;; amdgpu-corpus repo=ROCm/rocFFT kind=compiled arch=gfx950 opt=O3
	.text
	.amdgcn_target "amdgcn-amd-amdhsa--gfx950"
	.amdhsa_code_object_version 6
	.protected	fft_rtc_back_len918_factors_17_9_2_3_wgs_102_tpt_102_halfLds_sp_ip_CI_unitstride_sbrr_C2R_dirReg ; -- Begin function fft_rtc_back_len918_factors_17_9_2_3_wgs_102_tpt_102_halfLds_sp_ip_CI_unitstride_sbrr_C2R_dirReg
	.globl	fft_rtc_back_len918_factors_17_9_2_3_wgs_102_tpt_102_halfLds_sp_ip_CI_unitstride_sbrr_C2R_dirReg
	.p2align	8
	.type	fft_rtc_back_len918_factors_17_9_2_3_wgs_102_tpt_102_halfLds_sp_ip_CI_unitstride_sbrr_C2R_dirReg,@function
fft_rtc_back_len918_factors_17_9_2_3_wgs_102_tpt_102_halfLds_sp_ip_CI_unitstride_sbrr_C2R_dirReg: ; @fft_rtc_back_len918_factors_17_9_2_3_wgs_102_tpt_102_halfLds_sp_ip_CI_unitstride_sbrr_C2R_dirReg
; %bb.0:
	s_load_dwordx2 s[8:9], s[0:1], 0x50
	s_load_dwordx4 s[4:7], s[0:1], 0x0
	s_load_dwordx2 s[10:11], s[0:1], 0x18
	v_mul_u32_u24_e32 v1, 0x283, v0
	v_add_u32_sdwa v6, s2, v1 dst_sel:DWORD dst_unused:UNUSED_PAD src0_sel:DWORD src1_sel:WORD_1
	v_mov_b32_e32 v4, 0
	s_waitcnt lgkmcnt(0)
	v_cmp_lt_u64_e64 s[2:3], s[6:7], 2
	v_mov_b32_e32 v7, v4
	s_and_b64 vcc, exec, s[2:3]
	v_mov_b64_e32 v[2:3], 0
	s_cbranch_vccnz .LBB0_8
; %bb.1:
	s_load_dwordx2 s[2:3], s[0:1], 0x10
	s_add_u32 s12, s10, 8
	s_addc_u32 s13, s11, 0
	s_mov_b64 s[14:15], 1
	v_mov_b64_e32 v[2:3], 0
	s_waitcnt lgkmcnt(0)
	s_add_u32 s16, s2, 8
	s_addc_u32 s17, s3, 0
.LBB0_2:                                ; =>This Inner Loop Header: Depth=1
	s_load_dwordx2 s[18:19], s[16:17], 0x0
                                        ; implicit-def: $vgpr8_vgpr9
	s_waitcnt lgkmcnt(0)
	v_or_b32_e32 v5, s19, v7
	v_cmp_ne_u64_e32 vcc, 0, v[4:5]
	s_and_saveexec_b64 s[2:3], vcc
	s_xor_b64 s[20:21], exec, s[2:3]
	s_cbranch_execz .LBB0_4
; %bb.3:                                ;   in Loop: Header=BB0_2 Depth=1
	v_cvt_f32_u32_e32 v1, s18
	v_cvt_f32_u32_e32 v5, s19
	s_sub_u32 s2, 0, s18
	s_subb_u32 s3, 0, s19
	v_fmac_f32_e32 v1, 0x4f800000, v5
	v_rcp_f32_e32 v1, v1
	s_nop 0
	v_mul_f32_e32 v1, 0x5f7ffffc, v1
	v_mul_f32_e32 v5, 0x2f800000, v1
	v_trunc_f32_e32 v5, v5
	v_fmac_f32_e32 v1, 0xcf800000, v5
	v_cvt_u32_f32_e32 v5, v5
	v_cvt_u32_f32_e32 v1, v1
	v_mul_lo_u32 v8, s2, v5
	v_mul_hi_u32 v10, s2, v1
	v_mul_lo_u32 v9, s3, v1
	v_add_u32_e32 v10, v10, v8
	v_mul_lo_u32 v12, s2, v1
	v_add_u32_e32 v13, v10, v9
	v_mul_hi_u32 v8, v1, v12
	v_mul_hi_u32 v11, v1, v13
	v_mul_lo_u32 v10, v1, v13
	v_mov_b32_e32 v9, v4
	v_lshl_add_u64 v[8:9], v[8:9], 0, v[10:11]
	v_mul_hi_u32 v11, v5, v12
	v_mul_lo_u32 v12, v5, v12
	v_add_co_u32_e32 v8, vcc, v8, v12
	v_mul_hi_u32 v10, v5, v13
	s_nop 0
	v_addc_co_u32_e32 v8, vcc, v9, v11, vcc
	v_mov_b32_e32 v9, v4
	s_nop 0
	v_addc_co_u32_e32 v11, vcc, 0, v10, vcc
	v_mul_lo_u32 v10, v5, v13
	v_lshl_add_u64 v[8:9], v[8:9], 0, v[10:11]
	v_add_co_u32_e32 v1, vcc, v1, v8
	v_mul_lo_u32 v10, s2, v1
	s_nop 0
	v_addc_co_u32_e32 v5, vcc, v5, v9, vcc
	v_mul_lo_u32 v8, s2, v5
	v_mul_hi_u32 v9, s2, v1
	v_add_u32_e32 v8, v9, v8
	v_mul_lo_u32 v9, s3, v1
	v_add_u32_e32 v12, v8, v9
	v_mul_hi_u32 v14, v5, v10
	v_mul_lo_u32 v15, v5, v10
	v_mul_hi_u32 v9, v1, v12
	v_mul_lo_u32 v8, v1, v12
	v_mul_hi_u32 v10, v1, v10
	v_mov_b32_e32 v11, v4
	v_lshl_add_u64 v[8:9], v[10:11], 0, v[8:9]
	v_add_co_u32_e32 v8, vcc, v8, v15
	v_mul_hi_u32 v13, v5, v12
	s_nop 0
	v_addc_co_u32_e32 v8, vcc, v9, v14, vcc
	v_mul_lo_u32 v10, v5, v12
	s_nop 0
	v_addc_co_u32_e32 v11, vcc, 0, v13, vcc
	v_mov_b32_e32 v9, v4
	v_lshl_add_u64 v[8:9], v[8:9], 0, v[10:11]
	v_add_co_u32_e32 v1, vcc, v1, v8
	v_mul_hi_u32 v10, v6, v1
	s_nop 0
	v_addc_co_u32_e32 v5, vcc, v5, v9, vcc
	v_mad_u64_u32 v[8:9], s[2:3], v6, v5, 0
	v_mov_b32_e32 v11, v4
	v_lshl_add_u64 v[8:9], v[10:11], 0, v[8:9]
	v_mad_u64_u32 v[12:13], s[2:3], v7, v1, 0
	v_add_co_u32_e32 v1, vcc, v8, v12
	v_mad_u64_u32 v[10:11], s[2:3], v7, v5, 0
	s_nop 0
	v_addc_co_u32_e32 v8, vcc, v9, v13, vcc
	v_mov_b32_e32 v9, v4
	s_nop 0
	v_addc_co_u32_e32 v11, vcc, 0, v11, vcc
	v_lshl_add_u64 v[8:9], v[8:9], 0, v[10:11]
	v_mul_lo_u32 v1, s19, v8
	v_mul_lo_u32 v5, s18, v9
	v_mad_u64_u32 v[10:11], s[2:3], s18, v8, 0
	v_add3_u32 v1, v11, v5, v1
	v_sub_u32_e32 v5, v7, v1
	v_mov_b32_e32 v11, s19
	v_sub_co_u32_e32 v14, vcc, v6, v10
	v_lshl_add_u64 v[12:13], v[8:9], 0, 1
	s_nop 0
	v_subb_co_u32_e64 v5, s[2:3], v5, v11, vcc
	v_subrev_co_u32_e64 v10, s[2:3], s18, v14
	v_subb_co_u32_e32 v1, vcc, v7, v1, vcc
	s_nop 0
	v_subbrev_co_u32_e64 v5, s[2:3], 0, v5, s[2:3]
	v_cmp_le_u32_e64 s[2:3], s19, v5
	v_cmp_le_u32_e32 vcc, s19, v1
	s_nop 0
	v_cndmask_b32_e64 v11, 0, -1, s[2:3]
	v_cmp_le_u32_e64 s[2:3], s18, v10
	s_nop 1
	v_cndmask_b32_e64 v10, 0, -1, s[2:3]
	v_cmp_eq_u32_e64 s[2:3], s19, v5
	s_nop 1
	v_cndmask_b32_e64 v5, v11, v10, s[2:3]
	v_lshl_add_u64 v[10:11], v[8:9], 0, 2
	v_cmp_ne_u32_e64 s[2:3], 0, v5
	s_nop 1
	v_cndmask_b32_e64 v5, v13, v11, s[2:3]
	v_cndmask_b32_e64 v11, 0, -1, vcc
	v_cmp_le_u32_e32 vcc, s18, v14
	s_nop 1
	v_cndmask_b32_e64 v13, 0, -1, vcc
	v_cmp_eq_u32_e32 vcc, s19, v1
	s_nop 1
	v_cndmask_b32_e32 v1, v11, v13, vcc
	v_cmp_ne_u32_e32 vcc, 0, v1
	v_cndmask_b32_e64 v1, v12, v10, s[2:3]
	s_nop 0
	v_cndmask_b32_e32 v9, v9, v5, vcc
	v_cndmask_b32_e32 v8, v8, v1, vcc
.LBB0_4:                                ;   in Loop: Header=BB0_2 Depth=1
	s_andn2_saveexec_b64 s[2:3], s[20:21]
	s_cbranch_execz .LBB0_6
; %bb.5:                                ;   in Loop: Header=BB0_2 Depth=1
	v_cvt_f32_u32_e32 v1, s18
	s_sub_i32 s20, 0, s18
	v_rcp_iflag_f32_e32 v1, v1
	s_nop 0
	v_mul_f32_e32 v1, 0x4f7ffffe, v1
	v_cvt_u32_f32_e32 v1, v1
	v_mul_lo_u32 v5, s20, v1
	v_mul_hi_u32 v5, v1, v5
	v_add_u32_e32 v1, v1, v5
	v_mul_hi_u32 v1, v6, v1
	v_mul_lo_u32 v5, v1, s18
	v_sub_u32_e32 v5, v6, v5
	v_add_u32_e32 v8, 1, v1
	v_subrev_u32_e32 v9, s18, v5
	v_cmp_le_u32_e32 vcc, s18, v5
	s_nop 1
	v_cndmask_b32_e32 v5, v5, v9, vcc
	v_cndmask_b32_e32 v1, v1, v8, vcc
	v_add_u32_e32 v8, 1, v1
	v_cmp_le_u32_e32 vcc, s18, v5
	v_mov_b32_e32 v9, v4
	s_nop 0
	v_cndmask_b32_e32 v8, v1, v8, vcc
.LBB0_6:                                ;   in Loop: Header=BB0_2 Depth=1
	s_or_b64 exec, exec, s[2:3]
	v_mad_u64_u32 v[10:11], s[2:3], v8, s18, 0
	s_load_dwordx2 s[2:3], s[12:13], 0x0
	v_mul_lo_u32 v1, v9, s18
	v_mul_lo_u32 v5, v8, s19
	v_add3_u32 v1, v11, v5, v1
	v_sub_co_u32_e32 v5, vcc, v6, v10
	s_add_u32 s14, s14, 1
	s_nop 0
	v_subb_co_u32_e32 v1, vcc, v7, v1, vcc
	s_addc_u32 s15, s15, 0
	s_waitcnt lgkmcnt(0)
	v_mul_lo_u32 v1, s2, v1
	v_mul_lo_u32 v6, s3, v5
	v_mad_u64_u32 v[2:3], s[2:3], s2, v5, v[2:3]
	s_add_u32 s12, s12, 8
	v_add3_u32 v3, v6, v3, v1
	s_addc_u32 s13, s13, 0
	v_mov_b64_e32 v[6:7], s[6:7]
	s_add_u32 s16, s16, 8
	v_cmp_ge_u64_e32 vcc, s[14:15], v[6:7]
	s_addc_u32 s17, s17, 0
	s_cbranch_vccnz .LBB0_9
; %bb.7:                                ;   in Loop: Header=BB0_2 Depth=1
	v_mov_b64_e32 v[6:7], v[8:9]
	s_branch .LBB0_2
.LBB0_8:
	v_mov_b64_e32 v[8:9], v[6:7]
.LBB0_9:
	s_lshl_b64 s[2:3], s[6:7], 3
	s_add_u32 s2, s10, s2
	s_addc_u32 s3, s11, s3
	s_load_dwordx2 s[6:7], s[2:3], 0x0
	s_load_dwordx2 s[10:11], s[0:1], 0x20
	s_mov_b32 s2, 0x2828283
	v_mov_b32_e32 v37, 0
	s_waitcnt lgkmcnt(0)
	v_mul_lo_u32 v1, s6, v9
	v_mul_lo_u32 v4, s7, v8
	v_mad_u64_u32 v[2:3], s[0:1], s6, v8, v[2:3]
	v_add3_u32 v3, v4, v3, v1
	v_mul_hi_u32 v1, v0, s2
	v_mul_u32_u24_e32 v1, 0x66, v1
	v_sub_u32_e32 v36, v0, v1
	v_cmp_gt_u64_e64 s[0:1], s[10:11], v[8:9]
	v_lshl_add_u64 v[64:65], v[2:3], 3, s[8:9]
	v_mov_b32_e32 v34, v36
	s_and_saveexec_b64 s[2:3], s[0:1]
	s_cbranch_execz .LBB0_13
; %bb.10:
	v_lshl_add_u64 v[0:1], v[36:37], 3, v[64:65]
	v_add_co_u32_e32 v10, vcc, 0x1000, v0
	global_load_dwordx2 v[2:3], v[0:1], off
	global_load_dwordx2 v[4:5], v[0:1], off offset:816
	global_load_dwordx2 v[6:7], v[0:1], off offset:1632
	;; [unrolled: 1-line block ×3, first 2 shown]
	v_addc_co_u32_e32 v11, vcc, 0, v1, vcc
	global_load_dwordx2 v[12:13], v[0:1], off offset:3264
	global_load_dwordx2 v[14:15], v[0:1], off offset:4080
	;; [unrolled: 1-line block ×5, first 2 shown]
	v_lshl_add_u32 v0, v36, 3, 0
	s_movk_i32 s6, 0x65
	v_add_u32_e32 v1, 0x400, v0
	v_add_u32_e32 v10, 0x800, v0
	;; [unrolled: 1-line block ×3, first 2 shown]
	v_cmp_eq_u32_e32 vcc, s6, v36
	s_waitcnt vmcnt(7)
	ds_write2_b64 v0, v[2:3], v[4:5] offset1:102
	s_waitcnt vmcnt(5)
	ds_write2_b64 v1, v[6:7], v[8:9] offset0:76 offset1:178
	s_waitcnt vmcnt(3)
	ds_write2_b64 v10, v[12:13], v[14:15] offset0:152 offset1:254
	;; [unrolled: 2-line block ×3, first 2 shown]
	s_waitcnt vmcnt(0)
	ds_write_b64 v0, v[20:21] offset:6528
	v_mov_b64_e32 v[0:1], v[36:37]
	s_and_saveexec_b64 s[6:7], vcc
	s_cbranch_execz .LBB0_12
; %bb.11:
	v_add_co_u32_e32 v0, vcc, 0x1000, v64
	v_mov_b32_e32 v2, 0
	s_nop 0
	v_addc_co_u32_e32 v1, vcc, 0, v65, vcc
	global_load_dwordx2 v[0:1], v[0:1], off offset:3248
	v_mov_b32_e32 v36, 0x65
	s_waitcnt vmcnt(0)
	ds_write_b64 v2, v[0:1] offset:7344
	v_mov_b64_e32 v[0:1], 0x65
.LBB0_12:
	s_or_b64 exec, exec, s[6:7]
	v_mov_b32_e32 v34, v36
	v_mov_b64_e32 v[36:37], v[0:1]
.LBB0_13:
	s_or_b64 exec, exec, s[2:3]
	v_lshlrev_b32_e32 v0, 3, v34
	v_add_u32_e32 v250, 0, v0
	s_waitcnt lgkmcnt(0)
	s_barrier
	v_sub_u32_e32 v4, 0, v0
	ds_read_b32 v1, v250
	ds_read_b32 v2, v4 offset:7344
	s_add_u32 s2, s4, 0x1c28
	s_addc_u32 s3, s5, 0
	v_cmp_ne_u32_e32 vcc, 0, v34
	s_waitcnt lgkmcnt(0)
	v_add_f32_e32 v0, v2, v1
	v_sub_f32_e32 v1, v1, v2
	s_and_saveexec_b64 s[6:7], vcc
	s_xor_b64 s[6:7], exec, s[6:7]
	s_cbranch_execz .LBB0_15
; %bb.14:
	v_lshl_add_u64 v[2:3], v[36:37], 3, s[2:3]
	global_load_dwordx2 v[2:3], v[2:3], off
	ds_read_b32 v5, v4 offset:7348
	ds_read_b32 v9, v250 offset:4
	v_mov_b32_e32 v6, v1
	v_mov_b32_e32 v8, v0
	;; [unrolled: 1-line block ×3, first 2 shown]
	s_waitcnt lgkmcnt(0)
	v_add_f32_e32 v7, v5, v9
	v_sub_f32_e32 v9, v9, v5
	v_mov_b32_e32 v10, v7
	s_waitcnt vmcnt(0)
	v_pk_mul_f32 v[12:13], v[6:7], v[2:3] op_sel:[0,1]
	v_pk_fma_f32 v[6:7], v[6:7], v[2:3], v[8:9] op_sel:[0,1,0]
	v_mov_b32_e32 v1, v13
	v_mov_b32_e32 v13, v9
	v_pk_fma_f32 v[14:15], v[2:3], v[10:11], v[6:7] neg_lo:[1,0,0] neg_hi:[1,0,0]
	v_pk_fma_f32 v[6:7], v[2:3], v[10:11], v[6:7] op_sel_hi:[0,1,1]
	v_pk_add_f32 v[0:1], v[0:1], v[12:13] neg_lo:[0,1] neg_hi:[0,1]
	v_mov_b32_e32 v15, v7
	v_pk_fma_f32 v[0:1], v[2:3], v[10:11], v[0:1] op_sel_hi:[0,1,1]
	ds_write_b64 v4, v[0:1] offset:7344
	v_mov_b64_e32 v[0:1], v[14:15]
.LBB0_15:
	s_andn2_saveexec_b64 s[6:7], s[6:7]
	s_cbranch_execz .LBB0_17
; %bb.16:
	v_mov_b32_e32 v5, 0
	ds_read_b64 v[2:3], v5 offset:3672
	s_mov_b32 s8, 2.0
	s_mov_b32 s9, -2.0
	s_waitcnt lgkmcnt(0)
	v_pk_mul_f32 v[2:3], v[2:3], s[8:9]
	ds_write_b64 v5, v[2:3] offset:3672
.LBB0_17:
	s_or_b64 exec, exec, s[6:7]
	v_mov_b32_e32 v35, 0
	v_lshl_add_u64 v[2:3], v[34:35], 3, s[2:3]
	global_load_dwordx2 v[6:7], v[2:3], off offset:816
	global_load_dwordx2 v[8:9], v[2:3], off offset:1632
	;; [unrolled: 1-line block ×3, first 2 shown]
	ds_write_b64 v250, v[0:1]
	ds_read_b64 v[0:1], v4 offset:6528
	ds_read_b64 v[12:13], v250 offset:816
	v_cmp_gt_u32_e32 vcc, 51, v34
	s_waitcnt lgkmcnt(0)
	v_pk_add_f32 v[14:15], v[12:13], v[0:1]
	v_pk_add_f32 v[0:1], v[12:13], v[0:1] neg_lo:[0,1] neg_hi:[0,1]
	v_mov_b32_e32 v12, v15
	v_mov_b32_e32 v13, v0
	;; [unrolled: 1-line block ×3, first 2 shown]
	s_waitcnt vmcnt(2)
	v_pk_mul_f32 v[16:17], v[12:13], v[6:7] op_sel:[0,1]
	s_nop 0
	v_pk_add_f32 v[18:19], v[14:15], v[16:17] op_sel:[0,1] op_sel_hi:[1,0]
	v_mov_b32_e32 v15, v16
	v_mov_b32_e32 v0, v17
	v_pk_fma_f32 v[16:17], v[6:7], v[12:13], v[18:19] neg_lo:[1,0,0] neg_hi:[1,0,0]
	v_pk_fma_f32 v[18:19], v[6:7], v[12:13], v[18:19] op_sel_hi:[0,1,1]
	v_pk_add_f32 v[0:1], v[14:15], v[0:1] neg_lo:[0,1] neg_hi:[0,1]
	v_mov_b32_e32 v17, v19
	v_pk_fma_f32 v[0:1], v[6:7], v[12:13], v[0:1] op_sel_hi:[0,1,1]
	ds_write_b64 v250, v[16:17] offset:816
	ds_write_b64 v4, v[0:1] offset:6528
	ds_read_b64 v[0:1], v4 offset:5712
	ds_read_b64 v[6:7], v250 offset:1632
	s_waitcnt lgkmcnt(0)
	v_pk_add_f32 v[12:13], v[6:7], v[0:1]
	v_pk_add_f32 v[0:1], v[6:7], v[0:1] neg_lo:[0,1] neg_hi:[0,1]
	v_mov_b32_e32 v6, v13
	v_mov_b32_e32 v7, v0
	;; [unrolled: 1-line block ×3, first 2 shown]
	s_waitcnt vmcnt(1)
	v_pk_mul_f32 v[14:15], v[6:7], v[8:9] op_sel:[0,1]
	s_nop 0
	v_pk_add_f32 v[16:17], v[12:13], v[14:15] op_sel:[0,1] op_sel_hi:[1,0]
	v_mov_b32_e32 v13, v14
	v_mov_b32_e32 v0, v15
	v_pk_fma_f32 v[14:15], v[8:9], v[6:7], v[16:17] neg_lo:[1,0,0] neg_hi:[1,0,0]
	v_pk_fma_f32 v[16:17], v[8:9], v[6:7], v[16:17] op_sel_hi:[0,1,1]
	v_pk_add_f32 v[0:1], v[12:13], v[0:1] neg_lo:[0,1] neg_hi:[0,1]
	v_mov_b32_e32 v15, v17
	v_pk_fma_f32 v[0:1], v[8:9], v[6:7], v[0:1] op_sel_hi:[0,1,1]
	ds_write_b64 v250, v[14:15] offset:1632
	ds_write_b64 v4, v[0:1] offset:5712
	ds_read_b64 v[0:1], v4 offset:4896
	ds_read_b64 v[6:7], v250 offset:2448
	s_waitcnt lgkmcnt(0)
	v_pk_add_f32 v[8:9], v[6:7], v[0:1]
	v_pk_add_f32 v[0:1], v[6:7], v[0:1] neg_lo:[0,1] neg_hi:[0,1]
	v_mov_b32_e32 v6, v9
	v_mov_b32_e32 v7, v0
	;; [unrolled: 1-line block ×3, first 2 shown]
	s_waitcnt vmcnt(0)
	v_pk_mul_f32 v[12:13], v[6:7], v[10:11] op_sel:[0,1]
	s_nop 0
	v_pk_add_f32 v[14:15], v[8:9], v[12:13] op_sel:[0,1] op_sel_hi:[1,0]
	v_mov_b32_e32 v9, v12
	v_mov_b32_e32 v0, v13
	v_pk_fma_f32 v[12:13], v[10:11], v[6:7], v[14:15] neg_lo:[1,0,0] neg_hi:[1,0,0]
	v_pk_fma_f32 v[14:15], v[10:11], v[6:7], v[14:15] op_sel_hi:[0,1,1]
	v_pk_add_f32 v[0:1], v[8:9], v[0:1] neg_lo:[0,1] neg_hi:[0,1]
	v_mov_b32_e32 v13, v15
	v_pk_fma_f32 v[0:1], v[10:11], v[6:7], v[0:1] op_sel_hi:[0,1,1]
	ds_write_b64 v250, v[12:13] offset:2448
	ds_write_b64 v4, v[0:1] offset:4896
	s_and_saveexec_b64 s[2:3], vcc
	s_cbranch_execz .LBB0_19
; %bb.18:
	global_load_dwordx2 v[0:1], v[2:3], off offset:3264
	ds_read_b64 v[2:3], v4 offset:4080
	ds_read_b64 v[6:7], v250 offset:3264
	s_waitcnt lgkmcnt(0)
	v_pk_add_f32 v[8:9], v[6:7], v[2:3]
	v_pk_add_f32 v[2:3], v[6:7], v[2:3] neg_lo:[0,1] neg_hi:[0,1]
	v_mov_b32_e32 v6, v9
	v_mov_b32_e32 v7, v2
	;; [unrolled: 1-line block ×3, first 2 shown]
	s_waitcnt vmcnt(0)
	v_pk_mul_f32 v[10:11], v[6:7], v[0:1] op_sel:[0,1]
	s_nop 0
	v_pk_add_f32 v[12:13], v[8:9], v[10:11] op_sel:[0,1] op_sel_hi:[1,0]
	v_mov_b32_e32 v9, v10
	v_mov_b32_e32 v2, v11
	v_pk_fma_f32 v[10:11], v[0:1], v[6:7], v[12:13] neg_lo:[1,0,0] neg_hi:[1,0,0]
	v_pk_fma_f32 v[12:13], v[0:1], v[6:7], v[12:13] op_sel_hi:[0,1,1]
	v_pk_add_f32 v[2:3], v[8:9], v[2:3] neg_lo:[0,1] neg_hi:[0,1]
	v_mov_b32_e32 v11, v13
	v_pk_fma_f32 v[0:1], v[0:1], v[6:7], v[2:3] op_sel_hi:[0,1,1]
	ds_write_b64 v250, v[10:11] offset:3264
	ds_write_b64 v4, v[0:1] offset:4080
.LBB0_19:
	s_or_b64 exec, exec, s[2:3]
	s_waitcnt lgkmcnt(0)
	s_barrier
	s_barrier
	ds_read2_b64 v[0:3], v250 offset1:54
	v_add_u32_e32 v4, 0x1400, v250
	v_add_u32_e32 v70, 0x1000, v250
	ds_read_b64 v[78:79], v250 offset:6912
	ds_read2_b64 v[4:7], v4 offset0:116 offset1:170
	ds_read2_b64 v[12:15], v250 offset0:108 offset1:162
	;; [unrolled: 1-line block ×3, first 2 shown]
	s_mov_b32 s8, 0xbf7ba420
	s_waitcnt lgkmcnt(3)
	v_pk_add_f32 v[98:99], v[78:79], v[2:3]
	v_pk_add_f32 v[100:101], v[2:3], v[78:79] neg_lo:[0,1] neg_hi:[0,1]
	s_mov_b32 s9, 0xbe3c28d5
	s_mov_b32 s10, 0x3f6eb680
	s_waitcnt lgkmcnt(1)
	v_pk_add_f32 v[94:95], v[6:7], v[12:13]
	v_pk_add_f32 v[96:97], v[12:13], v[6:7] neg_lo:[0,1] neg_hi:[0,1]
	v_mov_b32_e32 v16, v101
	v_mov_b32_e32 v17, v99
	s_mov_b32 s2, s9
	s_mov_b32 s3, s8
	;; [unrolled: 1-line block ×3, first 2 shown]
	v_pk_mul_f32 v[32:33], v[16:17], s[2:3]
	v_mov_b32_e32 v44, v98
	v_mov_b32_e32 v45, v100
	;; [unrolled: 1-line block ×4, first 2 shown]
	s_mov_b32 s2, s11
	s_mov_b32 s3, s10
	v_pk_fma_f32 v[16:17], v[44:45], s[8:9], v[32:33] neg_lo:[0,0,1] neg_hi:[0,0,1]
	v_pk_fma_f32 v[46:47], v[44:45], s[8:9], v[32:33]
	v_pk_mul_f32 v[40:41], v[18:19], s[2:3]
	v_mov_b32_e32 v48, v94
	v_mov_b32_e32 v49, v96
	v_mov_b32_e32 v17, v47
	v_pk_fma_f32 v[18:19], v[48:49], s[10:11], v[40:41] neg_lo:[0,0,1] neg_hi:[0,0,1]
	v_pk_fma_f32 v[50:51], v[48:49], s[10:11], v[40:41]
	s_mov_b32 s12, 0xbf59a7d5
	v_pk_add_f32 v[90:91], v[4:5], v[14:15]
	v_pk_add_f32 v[92:93], v[14:15], v[4:5] neg_lo:[0,1] neg_hi:[0,1]
	v_pk_add_f32 v[16:17], v[0:1], v[16:17]
	v_mov_b32_e32 v19, v51
	s_mov_b32 s13, 0xbf06c442
	v_add_u32_e32 v71, 0x400, v250
	v_pk_add_f32 v[20:21], v[18:19], v[16:17]
	v_mov_b32_e32 v16, v93
	v_mov_b32_e32 v17, v91
	s_mov_b32 s2, s13
	s_mov_b32 s3, s12
	v_pk_mul_f32 v[42:43], v[16:17], s[2:3]
	ds_read2_b64 v[16:19], v71 offset0:88 offset1:142
	v_mov_b32_e32 v54, v90
	v_mov_b32_e32 v55, v92
	v_pk_fma_f32 v[22:23], v[54:55], s[12:13], v[42:43] neg_lo:[0,0,1] neg_hi:[0,0,1]
	v_pk_fma_f32 v[56:57], v[54:55], s[12:13], v[42:43]
	s_mov_b32 s14, 0x3f3d2fb0
	v_mov_b32_e32 v23, v57
	s_waitcnt lgkmcnt(0)
	v_pk_add_f32 v[126:127], v[10:11], v[16:17]
	v_pk_add_f32 v[128:129], v[16:17], v[10:11] neg_lo:[0,1] neg_hi:[0,1]
	s_mov_b32 s15, 0x3f2c7751
	v_pk_add_f32 v[20:21], v[22:23], v[20:21]
	v_mov_b32_e32 v22, v129
	v_mov_b32_e32 v23, v127
	s_mov_b32 s2, s15
	s_mov_b32 s3, s14
	v_pk_mul_f32 v[52:53], v[22:23], s[2:3]
	v_mov_b32_e32 v60, v126
	v_mov_b32_e32 v61, v128
	v_pk_fma_f32 v[22:23], v[60:61], s[14:15], v[52:53] neg_lo:[0,0,1] neg_hi:[0,0,1]
	v_pk_fma_f32 v[62:63], v[60:61], s[14:15], v[52:53]
	s_mov_b32 s16, 0xbf1a4643
	v_mov_b32_e32 v23, v63
	v_pk_add_f32 v[138:139], v[8:9], v[18:19]
	v_pk_add_f32 v[140:141], v[18:19], v[8:9] neg_lo:[0,1] neg_hi:[0,1]
	s_mov_b32 s17, 0xbf4c4adb
	v_pk_add_f32 v[28:29], v[22:23], v[20:21]
	v_mov_b32_e32 v20, v141
	v_mov_b32_e32 v21, v139
	s_mov_b32 s2, s17
	s_mov_b32 s3, s16
	v_add_u32_e32 v251, 0x800, v250
	v_pk_mul_f32 v[58:59], v[20:21], s[2:3]
	ds_read2_b64 v[24:27], v251 offset0:68 offset1:122
	ds_read2_b64 v[20:23], v70 offset0:28 offset1:82
	v_mov_b32_e32 v66, v138
	v_mov_b32_e32 v67, v140
	v_pk_fma_f32 v[30:31], v[66:67], s[16:17], v[58:59] neg_lo:[0,0,1] neg_hi:[0,0,1]
	v_pk_fma_f32 v[68:69], v[66:67], s[16:17], v[58:59]
	s_mov_b32 s18, 0x3ee437d1
	v_mov_b32_e32 v31, v69
	s_waitcnt lgkmcnt(0)
	v_pk_add_f32 v[142:143], v[22:23], v[24:25]
	v_pk_add_f32 v[144:145], v[24:25], v[22:23] neg_lo:[0,1] neg_hi:[0,1]
	s_mov_b32 s19, 0x3f65296c
	v_pk_add_f32 v[28:29], v[30:31], v[28:29]
	v_mov_b32_e32 v30, v145
	v_mov_b32_e32 v31, v143
	s_mov_b32 s2, s19
	s_mov_b32 s3, s18
	v_pk_mul_f32 v[104:105], v[30:31], s[2:3]
	v_mov_b32_e32 v72, v142
	v_mov_b32_e32 v73, v144
	v_pk_fma_f32 v[30:31], v[72:73], s[18:19], v[104:105] neg_lo:[0,0,1] neg_hi:[0,0,1]
	v_pk_fma_f32 v[74:75], v[72:73], s[18:19], v[104:105]
	s_mov_b32 s20, 0xbe8c1d8e
	v_mov_b32_e32 v31, v75
	v_pk_add_f32 v[146:147], v[20:21], v[26:27]
	v_pk_add_f32 v[148:149], v[26:27], v[20:21] neg_lo:[0,1] neg_hi:[0,1]
	s_mov_b32 s21, 0xbf763a35
	v_pk_add_f32 v[38:39], v[30:31], v[28:29]
	v_mov_b32_e32 v28, v149
	v_mov_b32_e32 v29, v147
	s_mov_b32 s2, s21
	s_mov_b32 s3, s20
	v_pk_mul_f32 v[106:107], v[28:29], s[2:3]
	ds_read2_b64 v[28:31], v251 offset0:176 offset1:230
	v_mov_b32_e32 v80, v146
	v_mov_b32_e32 v81, v148
	v_pk_fma_f32 v[84:85], v[80:81], s[20:21], v[106:107] neg_lo:[0,0,1] neg_hi:[0,0,1]
	v_pk_fma_f32 v[82:83], v[80:81], s[20:21], v[106:107]
	s_mov_b32 s22, 0x3dbcf732
	v_mov_b32_e32 v85, v83
	s_waitcnt lgkmcnt(0)
	v_pk_add_f32 v[154:155], v[30:31], v[28:29]
	v_pk_add_f32 v[160:161], v[28:29], v[30:31] neg_lo:[0,1] neg_hi:[0,1]
	s_mov_b32 s23, 0x3f7ee86f
	v_pk_add_f32 v[38:39], v[84:85], v[38:39]
	v_mov_b32_e32 v84, v161
	v_mov_b32_e32 v85, v155
	s_mov_b32 s2, s23
	s_mov_b32 s3, s22
	v_pk_mul_f32 v[84:85], v[84:85], s[2:3]
	v_mov_b32_e32 v86, v154
	v_mov_b32_e32 v87, v160
	v_pk_fma_f32 v[102:103], v[86:87], s[22:23], v[84:85] neg_lo:[0,0,1] neg_hi:[0,0,1]
	v_pk_fma_f32 v[88:89], v[86:87], s[22:23], v[84:85]
	v_cmp_gt_u32_e64 s[2:3], 54, v34
	v_mov_b32_e32 v103, v89
	v_pk_add_f32 v[76:77], v[102:103], v[38:39]
	s_barrier
	s_and_saveexec_b64 s[6:7], s[2:3]
	s_cbranch_execz .LBB0_21
; %bb.20:
	v_pk_add_f32 v[2:3], v[0:1], v[2:3]
	s_mov_b32 s2, 0xbeb8f4ab
	v_pk_add_f32 v[2:3], v[2:3], v[12:13]
	v_pk_mul_f32 v[102:103], v[100:101], s[2:3] op_sel_hi:[1,0]
	v_pk_add_f32 v[2:3], v[2:3], v[14:15]
	s_mov_b32 s30, 0xbf2c7751
	v_pk_add_f32 v[2:3], v[2:3], v[16:17]
	v_pk_mul_f32 v[12:13], v[96:97], s[30:31] op_sel_hi:[1,0]
	;; [unrolled: 4-line block ×4, first 2 shown]
	v_pk_add_f32 v[2:3], v[2:3], v[30:31]
	s_mov_b32 s24, s21
	v_pk_add_f32 v[2:3], v[2:3], v[20:21]
	v_accvgpr_write_b32 a18, v104
	v_pk_add_f32 v[2:3], v[2:3], v[22:23]
	v_pk_fma_f32 v[20:21], v[126:127], s[22:23], v[16:17] op_sel:[0,0,1] op_sel_hi:[1,0,0]
	v_pk_add_f32 v[2:3], v[2:3], v[8:9]
	v_pk_fma_f32 v[8:9], v[94:95], s[14:15], v[12:13] op_sel:[0,0,1] op_sel_hi:[1,0,0] neg_lo:[0,0,1] neg_hi:[0,0,1]
	v_pk_add_f32 v[2:3], v[2:3], v[10:11]
	v_pk_fma_f32 v[16:17], v[126:127], s[22:23], v[16:17] op_sel:[0,0,1] op_sel_hi:[1,0,0] neg_lo:[0,0,1] neg_hi:[0,0,1]
	v_pk_add_f32 v[2:3], v[2:3], v[4:5]
	v_accvgpr_write_b32 a19, v105
	v_pk_add_f32 v[2:3], v[2:3], v[6:7]
	v_pk_fma_f32 v[6:7], v[98:99], s[10:11], v[102:103] op_sel:[0,0,1] op_sel_hi:[1,0,0]
	v_pk_add_f32 v[108:109], v[2:3], v[78:79]
	v_pk_fma_f32 v[2:3], v[98:99], s[10:11], v[102:103] op_sel:[0,0,1] op_sel_hi:[1,0,0] neg_lo:[0,0,1] neg_hi:[0,0,1]
	v_accvgpr_write_b32 a5, v7
	v_mov_b32_e32 v7, v3
	v_accvgpr_write_b32 a4, v2
	v_pk_fma_f32 v[2:3], v[94:95], s[14:15], v[12:13] op_sel:[0,0,1] op_sel_hi:[1,0,0]
	v_pk_add_f32 v[10:11], v[0:1], v[6:7]
	v_mov_b32_e32 v12, v2
	v_mov_b32_e32 v13, v9
	v_accvgpr_write_b32 a7, v3
	v_pk_add_f32 v[18:19], v[12:13], v[10:11]
	v_pk_fma_f32 v[2:3], v[90:91], s[18:19], v[14:15] op_sel:[0,0,1] op_sel_hi:[1,0,0]
	v_pk_fma_f32 v[12:13], v[90:91], s[18:19], v[14:15] op_sel:[0,0,1] op_sel_hi:[1,0,0] neg_lo:[0,0,1] neg_hi:[0,0,1]
	v_mov_b32_e32 v14, v2
	v_mov_b32_e32 v15, v13
	v_pk_mul_f32 v[104:105], v[140:141], s[24:25] op_sel_hi:[1,0]
	s_mov_b32 s36, s17
	v_pk_add_f32 v[18:19], v[14:15], v[18:19]
	v_accvgpr_write_b32 a11, v21
	v_mov_b32_e32 v21, v17
	v_pk_mul_f32 v[24:25], v[144:145], s[36:37] op_sel_hi:[1,0]
	v_pk_add_f32 v[22:23], v[20:21], v[18:19]
	v_pk_fma_f32 v[18:19], v[138:139], s[20:21], v[104:105] op_sel:[0,0,1] op_sel_hi:[1,0,0]
	v_pk_fma_f32 v[20:21], v[138:139], s[20:21], v[104:105] op_sel:[0,0,1] op_sel_hi:[1,0,0] neg_lo:[0,0,1] neg_hi:[0,0,1]
	s_mov_b32 s34, s13
	v_accvgpr_write_b32 a20, v106
	v_mov_b32_e32 v26, v18
	v_mov_b32_e32 v27, v21
	v_pk_fma_f32 v[28:29], v[142:143], s[16:17], v[24:25] op_sel:[0,0,1] op_sel_hi:[1,0,0]
	v_pk_fma_f32 v[24:25], v[142:143], s[16:17], v[24:25] op_sel:[0,0,1] op_sel_hi:[1,0,0] neg_lo:[0,0,1] neg_hi:[0,0,1]
	v_accvgpr_write_b32 a21, v107
	v_pk_mul_f32 v[106:107], v[148:149], s[34:35] op_sel_hi:[1,0]
	v_pk_add_f32 v[26:27], v[26:27], v[22:23]
	v_accvgpr_write_b32 a13, v29
	v_mov_b32_e32 v29, v25
	v_pk_add_f32 v[30:31], v[28:29], v[26:27]
	v_pk_fma_f32 v[78:79], v[146:147], s[12:13], v[106:107] op_sel:[0,0,1] op_sel_hi:[1,0,0]
	v_pk_fma_f32 v[28:29], v[146:147], s[12:13], v[106:107] op_sel:[0,0,1] op_sel_hi:[1,0,0] neg_lo:[0,0,1] neg_hi:[0,0,1]
	s_mov_b32 s26, s9
	v_accvgpr_write_b32 a15, v79
	v_mov_b32_e32 v79, v29
	v_pk_add_f32 v[102:103], v[78:79], v[30:31]
	v_pk_mul_f32 v[78:79], v[160:161], s[26:27] op_sel_hi:[1,0]
	v_lshl_add_u32 v18, v34, 7, v250
	v_pk_fma_f32 v[104:105], v[154:155], s[8:9], v[78:79] op_sel:[0,0,1] op_sel_hi:[1,0,0]
	v_pk_fma_f32 v[78:79], v[154:155], s[8:9], v[78:79] op_sel:[0,0,1] op_sel_hi:[1,0,0] neg_lo:[0,0,1] neg_hi:[0,0,1]
	v_accvgpr_write_b32 a17, v105
	v_mov_b32_e32 v105, v79
	v_pk_add_f32 v[102:103], v[104:105], v[102:103]
	v_pk_mul_f32 v[104:105], v[100:101], s[30:31] op_sel_hi:[1,0]
	ds_write2_b64 v18, v[108:109], v[102:103] offset1:1
	v_pk_fma_f32 v[106:107], v[98:99], s[14:15], v[104:105] op_sel:[0,0,1] op_sel_hi:[1,0,0]
	v_pk_fma_f32 v[104:105], v[98:99], s[14:15], v[104:105] op_sel:[0,0,1] op_sel_hi:[1,0,0] neg_lo:[0,0,1] neg_hi:[0,0,1]
	v_pk_mul_f32 v[108:109], v[96:97], s[28:29] op_sel_hi:[1,0]
	v_mov_b32_e32 v17, v107
	v_mov_b32_e32 v107, v105
	v_pk_fma_f32 v[112:113], v[94:95], s[22:23], v[108:109] op_sel:[0,0,1] op_sel_hi:[1,0,0]
	v_pk_fma_f32 v[108:109], v[94:95], s[22:23], v[108:109] op_sel:[0,0,1] op_sel_hi:[1,0,0] neg_lo:[0,0,1] neg_hi:[0,0,1]
	v_pk_add_f32 v[110:111], v[0:1], v[106:107]
	v_mov_b32_e32 v21, v113
	v_mov_b32_e32 v113, v109
	v_pk_add_f32 v[114:115], v[112:113], v[110:111]
	v_pk_mul_f32 v[112:113], v[92:93], s[36:37] op_sel_hi:[1,0]
	s_mov_b32 s46, 0x3f06c442
	v_pk_fma_f32 v[116:117], v[90:91], s[16:17], v[112:113] op_sel:[0,0,1] op_sel_hi:[1,0,0]
	v_pk_fma_f32 v[112:113], v[90:91], s[16:17], v[112:113] op_sel:[0,0,1] op_sel_hi:[1,0,0] neg_lo:[0,0,1] neg_hi:[0,0,1]
	v_mov_b32_e32 v25, v117
	v_mov_b32_e32 v117, v113
	v_pk_add_f32 v[118:119], v[116:117], v[114:115]
	v_pk_mul_f32 v[116:117], v[128:129], s[26:27] op_sel_hi:[1,0]
	s_mov_b32 s44, 0x3f763a35
	v_pk_fma_f32 v[120:121], v[126:127], s[8:9], v[116:117] op_sel:[0,0,1] op_sel_hi:[1,0,0]
	v_pk_fma_f32 v[116:117], v[126:127], s[8:9], v[116:117] op_sel:[0,0,1] op_sel_hi:[1,0,0] neg_lo:[0,0,1] neg_hi:[0,0,1]
	;; [unrolled: 7-line block ×4, first 2 shown]
	v_mov_b32_e32 v132, v122
	v_mov_b32_e32 v133, v125
	v_pk_add_f32 v[134:135], v[132:133], v[130:131]
	v_pk_mul_f32 v[132:133], v[148:149], s[40:41] op_sel_hi:[1,0]
	v_pk_mul_f32 v[158:159], v[96:97], s[36:37] op_sel_hi:[1,0]
	v_pk_fma_f32 v[130:131], v[146:147], s[18:19], v[132:133] op_sel:[0,0,1] op_sel_hi:[1,0,0]
	v_pk_fma_f32 v[132:133], v[146:147], s[18:19], v[132:133] op_sel:[0,0,1] op_sel_hi:[1,0,0] neg_lo:[0,0,1] neg_hi:[0,0,1]
	v_mov_b32_e32 v136, v130
	v_mov_b32_e32 v137, v133
	v_pk_add_f32 v[150:151], v[136:137], v[134:135]
	v_pk_mul_f32 v[136:137], v[160:161], s[48:49] op_sel_hi:[1,0]
	s_mov_b32 s42, 0x3e3c28d5
	v_pk_fma_f32 v[134:135], v[154:155], s[10:11], v[136:137] op_sel:[0,0,1] op_sel_hi:[1,0,0]
	v_pk_fma_f32 v[136:137], v[154:155], s[10:11], v[136:137] op_sel:[0,0,1] op_sel_hi:[1,0,0] neg_lo:[0,0,1] neg_hi:[0,0,1]
	v_mov_b32_e32 v152, v134
	v_mov_b32_e32 v153, v137
	v_pk_add_f32 v[186:187], v[152:153], v[150:151]
	v_pk_mul_f32 v[152:153], v[100:101], s[38:39] op_sel_hi:[1,0]
	v_pk_mul_f32 v[192:193], v[96:97], s[44:45] op_sel_hi:[1,0]
	v_pk_fma_f32 v[150:151], v[98:99], s[18:19], v[152:153] op_sel:[0,0,1] op_sel_hi:[1,0,0]
	v_pk_fma_f32 v[152:153], v[98:99], s[18:19], v[152:153] op_sel:[0,0,1] op_sel_hi:[1,0,0] neg_lo:[0,0,1] neg_hi:[0,0,1]
	v_mov_b32_e32 v156, v150
	v_mov_b32_e32 v157, v153
	v_pk_add_f32 v[162:163], v[0:1], v[156:157]
	v_pk_fma_f32 v[156:157], v[94:95], s[16:17], v[158:159] op_sel:[0,0,1] op_sel_hi:[1,0,0]
	v_pk_fma_f32 v[158:159], v[94:95], s[16:17], v[158:159] op_sel:[0,0,1] op_sel_hi:[1,0,0] neg_lo:[0,0,1] neg_hi:[0,0,1]
	v_mov_b32_e32 v164, v156
	v_mov_b32_e32 v165, v159
	v_pk_add_f32 v[166:167], v[164:165], v[162:163]
	v_pk_mul_f32 v[164:165], v[92:93], s[42:43] op_sel_hi:[1,0]
	s_mov_b32 s42, s15
	v_pk_fma_f32 v[162:163], v[90:91], s[8:9], v[164:165] op_sel:[0,0,1] op_sel_hi:[1,0,0]
	v_pk_fma_f32 v[164:165], v[90:91], s[8:9], v[164:165] op_sel:[0,0,1] op_sel_hi:[1,0,0] neg_lo:[0,0,1] neg_hi:[0,0,1]
	v_mov_b32_e32 v168, v162
	v_mov_b32_e32 v169, v165
	v_pk_add_f32 v[170:171], v[168:169], v[166:167]
	v_pk_mul_f32 v[168:169], v[128:129], s[44:45] op_sel_hi:[1,0]
	v_pk_fma_f32 v[10:11], v[94:95], s[20:21], v[192:193] op_sel:[0,0,1] op_sel_hi:[1,0,0]
	v_pk_fma_f32 v[166:167], v[126:127], s[20:21], v[168:169] op_sel:[0,0,1] op_sel_hi:[1,0,0]
	v_pk_fma_f32 v[168:169], v[126:127], s[20:21], v[168:169] op_sel:[0,0,1] op_sel_hi:[1,0,0] neg_lo:[0,0,1] neg_hi:[0,0,1]
	v_mov_b32_e32 v172, v166
	v_mov_b32_e32 v173, v169
	v_pk_add_f32 v[174:175], v[172:173], v[170:171]
	v_pk_mul_f32 v[172:173], v[140:141], s[42:43] op_sel_hi:[1,0]
	v_pk_fma_f32 v[192:193], v[94:95], s[20:21], v[192:193] op_sel:[0,0,1] op_sel_hi:[1,0,0] neg_lo:[0,0,1] neg_hi:[0,0,1]
	v_pk_fma_f32 v[170:171], v[138:139], s[14:15], v[172:173] op_sel:[0,0,1] op_sel_hi:[1,0,0]
	v_pk_fma_f32 v[172:173], v[138:139], s[14:15], v[172:173] op_sel:[0,0,1] op_sel_hi:[1,0,0] neg_lo:[0,0,1] neg_hi:[0,0,1]
	v_mov_b32_e32 v176, v170
	v_mov_b32_e32 v177, v173
	v_pk_add_f32 v[178:179], v[176:177], v[174:175]
	v_pk_mul_f32 v[176:177], v[144:145], s[2:3] op_sel_hi:[1,0]
	v_mov_b64_e32 v[102:103], v[40:41]
	v_pk_fma_f32 v[174:175], v[142:143], s[10:11], v[176:177] op_sel:[0,0,1] op_sel_hi:[1,0,0]
	v_pk_fma_f32 v[176:177], v[142:143], s[10:11], v[176:177] op_sel:[0,0,1] op_sel_hi:[1,0,0] neg_lo:[0,0,1] neg_hi:[0,0,1]
	v_mov_b32_e32 v180, v174
	v_mov_b32_e32 v181, v177
	v_pk_add_f32 v[182:183], v[180:181], v[178:179]
	v_pk_mul_f32 v[180:181], v[148:149], s[28:29] op_sel_hi:[1,0]
	v_mov_b32_e32 v40, v10
	v_pk_fma_f32 v[178:179], v[146:147], s[22:23], v[180:181] op_sel:[0,0,1] op_sel_hi:[1,0,0]
	v_pk_fma_f32 v[180:181], v[146:147], s[22:23], v[180:181] op_sel:[0,0,1] op_sel_hi:[1,0,0] neg_lo:[0,0,1] neg_hi:[0,0,1]
	v_mov_b32_e32 v184, v178
	v_mov_b32_e32 v185, v181
	v_pk_add_f32 v[188:189], v[184:185], v[182:183]
	v_pk_mul_f32 v[184:185], v[160:161], s[34:35] op_sel_hi:[1,0]
	v_mov_b32_e32 v41, v193
	v_pk_fma_f32 v[182:183], v[154:155], s[12:13], v[184:185] op_sel:[0,0,1] op_sel_hi:[1,0,0]
	v_pk_fma_f32 v[184:185], v[154:155], s[12:13], v[184:185] op_sel:[0,0,1] op_sel_hi:[1,0,0] neg_lo:[0,0,1] neg_hi:[0,0,1]
	v_mov_b32_e32 v190, v182
	v_mov_b32_e32 v191, v185
	v_pk_add_f32 v[188:189], v[190:191], v[188:189]
	ds_write2_b64 v18, v[186:187], v[188:189] offset0:2 offset1:3
	v_pk_mul_f32 v[186:187], v[100:101], s[28:29] op_sel_hi:[1,0]
	v_mov_b64_e32 v[114:115], v[52:53]
	v_pk_fma_f32 v[188:189], v[98:99], s[22:23], v[186:187] op_sel:[0,0,1] op_sel_hi:[1,0,0]
	v_pk_fma_f32 v[186:187], v[98:99], s[22:23], v[186:187] op_sel:[0,0,1] op_sel_hi:[1,0,0] neg_lo:[0,0,1] neg_hi:[0,0,1]
	v_mov_b32_e32 v190, v188
	v_mov_b32_e32 v191, v187
	v_pk_add_f32 v[194:195], v[0:1], v[190:191]
	v_pk_mul_f32 v[190:191], v[96:97], s[26:27] op_sel_hi:[1,0]
	v_accvgpr_write_b32 a0, v64
	v_pk_fma_f32 v[118:119], v[94:95], s[8:9], v[190:191] op_sel:[0,0,1] op_sel_hi:[1,0,0]
	v_pk_fma_f32 v[190:191], v[94:95], s[8:9], v[190:191] op_sel:[0,0,1] op_sel_hi:[1,0,0] neg_lo:[0,0,1] neg_hi:[0,0,1]
	v_mov_b32_e32 v196, v118
	v_mov_b32_e32 v197, v191
	v_pk_add_f32 v[198:199], v[196:197], v[194:195]
	v_pk_mul_f32 v[196:197], v[92:93], s[44:45] op_sel_hi:[1,0]
	v_accvgpr_write_b32 a1, v65
	v_pk_fma_f32 v[194:195], v[90:91], s[20:21], v[196:197] op_sel:[0,0,1] op_sel_hi:[1,0,0]
	v_pk_fma_f32 v[196:197], v[90:91], s[20:21], v[196:197] op_sel:[0,0,1] op_sel_hi:[1,0,0] neg_lo:[0,0,1] neg_hi:[0,0,1]
	v_mov_b32_e32 v200, v194
	v_mov_b32_e32 v201, v197
	v_pk_add_f32 v[202:203], v[200:201], v[198:199]
	v_pk_mul_f32 v[200:201], v[128:129], s[48:49] op_sel_hi:[1,0]
	s_mov_b32 s48, 0x3f4c4adb
	v_pk_fma_f32 v[198:199], v[126:127], s[10:11], v[200:201] op_sel:[0,0,1] op_sel_hi:[1,0,0]
	v_pk_fma_f32 v[200:201], v[126:127], s[10:11], v[200:201] op_sel:[0,0,1] op_sel_hi:[1,0,0] neg_lo:[0,0,1] neg_hi:[0,0,1]
	v_mov_b32_e32 v204, v198
	v_mov_b32_e32 v205, v201
	v_pk_add_f32 v[206:207], v[204:205], v[202:203]
	v_pk_mul_f32 v[204:205], v[140:141], s[38:39] op_sel_hi:[1,0]
	v_mov_b64_e32 v[106:107], v[58:59]
	v_pk_fma_f32 v[202:203], v[138:139], s[18:19], v[204:205] op_sel:[0,0,1] op_sel_hi:[1,0,0]
	v_pk_fma_f32 v[204:205], v[138:139], s[18:19], v[204:205] op_sel:[0,0,1] op_sel_hi:[1,0,0] neg_lo:[0,0,1] neg_hi:[0,0,1]
	v_mov_b32_e32 v208, v202
	v_mov_b32_e32 v209, v205
	v_pk_add_f32 v[210:211], v[208:209], v[206:207]
	v_pk_mul_f32 v[208:209], v[144:145], s[34:35] op_sel_hi:[1,0]
	v_accvgpr_write_b32 a2, v76
	v_pk_fma_f32 v[206:207], v[142:143], s[12:13], v[208:209] op_sel:[0,0,1] op_sel_hi:[1,0,0]
	v_pk_fma_f32 v[208:209], v[142:143], s[12:13], v[208:209] op_sel:[0,0,1] op_sel_hi:[1,0,0] neg_lo:[0,0,1] neg_hi:[0,0,1]
	v_mov_b32_e32 v212, v206
	v_mov_b32_e32 v213, v209
	v_pk_add_f32 v[214:215], v[212:213], v[210:211]
	v_pk_mul_f32 v[212:213], v[148:149], s[48:49] op_sel_hi:[1,0]
	v_accvgpr_write_b32 a3, v77
	v_pk_fma_f32 v[210:211], v[146:147], s[16:17], v[212:213] op_sel:[0,0,1] op_sel_hi:[1,0,0]
	v_pk_fma_f32 v[212:213], v[146:147], s[16:17], v[212:213] op_sel:[0,0,1] op_sel_hi:[1,0,0] neg_lo:[0,0,1] neg_hi:[0,0,1]
	v_mov_b32_e32 v216, v210
	v_mov_b32_e32 v217, v213
	v_pk_add_f32 v[218:219], v[216:217], v[214:215]
	v_pk_mul_f32 v[216:217], v[160:161], s[42:43] op_sel_hi:[1,0]
	v_mov_b32_e32 v9, v70
	v_pk_fma_f32 v[214:215], v[154:155], s[14:15], v[216:217] op_sel:[0,0,1] op_sel_hi:[1,0,0]
	v_pk_fma_f32 v[216:217], v[154:155], s[14:15], v[216:217] op_sel:[0,0,1] op_sel_hi:[1,0,0] neg_lo:[0,0,1] neg_hi:[0,0,1]
	v_mov_b32_e32 v220, v214
	v_mov_b32_e32 v221, v217
	v_pk_add_f32 v[254:255], v[220:221], v[218:219]
	v_pk_mul_f32 v[218:219], v[100:101], s[24:25] op_sel_hi:[1,0]
	v_mov_b32_e32 v13, v71
	v_pk_fma_f32 v[220:221], v[98:99], s[20:21], v[218:219] op_sel:[0,0,1] op_sel_hi:[1,0,0]
	v_pk_fma_f32 v[218:219], v[98:99], s[20:21], v[218:219] op_sel:[0,0,1] op_sel_hi:[1,0,0] neg_lo:[0,0,1] neg_hi:[0,0,1]
	v_mov_b32_e32 v222, v220
	v_mov_b32_e32 v223, v219
	v_pk_add_f32 v[226:227], v[0:1], v[222:223]
	v_pk_mul_f32 v[222:223], v[96:97], s[46:47] op_sel_hi:[1,0]
	v_mov_b64_e32 v[110:111], v[84:85]
	v_pk_fma_f32 v[30:31], v[94:95], s[12:13], v[222:223] op_sel:[0,0,1] op_sel_hi:[1,0,0]
	v_pk_fma_f32 v[222:223], v[94:95], s[12:13], v[222:223] op_sel:[0,0,1] op_sel_hi:[1,0,0] neg_lo:[0,0,1] neg_hi:[0,0,1]
	v_mov_b32_e32 v228, v30
	v_mov_b32_e32 v229, v223
	v_pk_add_f32 v[230:231], v[228:229], v[226:227]
	v_pk_mul_f32 v[228:229], v[92:93], s[42:43] op_sel_hi:[1,0]
	v_mov_b64_e32 v[22:23], v[32:33]
	v_pk_fma_f32 v[226:227], v[90:91], s[14:15], v[228:229] op_sel:[0,0,1] op_sel_hi:[1,0,0]
	v_pk_fma_f32 v[228:229], v[90:91], s[14:15], v[228:229] op_sel:[0,0,1] op_sel_hi:[1,0,0] neg_lo:[0,0,1] neg_hi:[0,0,1]
	v_mov_b32_e32 v232, v226
	v_mov_b32_e32 v233, v229
	v_pk_add_f32 v[234:235], v[232:233], v[230:231]
	v_pk_mul_f32 v[232:233], v[128:129], s[38:39] op_sel_hi:[1,0]
	s_mov_b32 s38, s23
	v_pk_fma_f32 v[230:231], v[126:127], s[18:19], v[232:233] op_sel:[0,0,1] op_sel_hi:[1,0,0]
	v_pk_fma_f32 v[232:233], v[126:127], s[18:19], v[232:233] op_sel:[0,0,1] op_sel_hi:[1,0,0] neg_lo:[0,0,1] neg_hi:[0,0,1]
	v_mov_b32_e32 v236, v230
	v_mov_b32_e32 v237, v233
	v_pk_add_f32 v[238:239], v[236:237], v[234:235]
	v_pk_mul_f32 v[236:237], v[140:141], s[26:27] op_sel_hi:[1,0]
	v_accvgpr_write_b32 a9, v3
	v_pk_fma_f32 v[234:235], v[138:139], s[8:9], v[236:237] op_sel:[0,0,1] op_sel_hi:[1,0,0]
	v_pk_fma_f32 v[236:237], v[138:139], s[8:9], v[236:237] op_sel:[0,0,1] op_sel_hi:[1,0,0] neg_lo:[0,0,1] neg_hi:[0,0,1]
	v_mov_b32_e32 v240, v234
	v_mov_b32_e32 v241, v237
	v_pk_add_f32 v[242:243], v[240:241], v[238:239]
	v_pk_mul_f32 v[240:241], v[144:145], s[38:39] op_sel_hi:[1,0]
	v_pk_mul_f32 v[96:97], v[96:97], s[40:41] op_sel_hi:[1,0]
	v_pk_fma_f32 v[238:239], v[142:143], s[22:23], v[240:241] op_sel:[0,0,1] op_sel_hi:[1,0,0]
	v_pk_fma_f32 v[240:241], v[142:143], s[22:23], v[240:241] op_sel:[0,0,1] op_sel_hi:[1,0,0] neg_lo:[0,0,1] neg_hi:[0,0,1]
	v_mov_b32_e32 v244, v238
	v_mov_b32_e32 v245, v241
	v_pk_add_f32 v[246:247], v[244:245], v[242:243]
	v_pk_mul_f32 v[244:245], v[148:149], s[2:3] op_sel_hi:[1,0]
	v_mov_b64_e32 v[14:15], v[42:43]
	v_pk_fma_f32 v[242:243], v[146:147], s[10:11], v[244:245] op_sel:[0,0,1] op_sel_hi:[1,0,0]
	v_pk_fma_f32 v[244:245], v[146:147], s[10:11], v[244:245] op_sel:[0,0,1] op_sel_hi:[1,0,0] neg_lo:[0,0,1] neg_hi:[0,0,1]
	v_mov_b32_e32 v248, v242
	v_mov_b32_e32 v249, v245
	v_pk_add_f32 v[252:253], v[248:249], v[246:247]
	v_pk_mul_f32 v[248:249], v[160:161], s[36:37] op_sel_hi:[1,0]
	v_pk_fma_f32 v[42:43], v[94:95], s[18:19], v[96:97] op_sel:[0,0,1] op_sel_hi:[1,0,0]
	v_pk_fma_f32 v[26:27], v[154:155], s[16:17], v[248:249] op_sel:[0,0,1] op_sel_hi:[1,0,0]
	v_pk_fma_f32 v[248:249], v[154:155], s[16:17], v[248:249] op_sel:[0,0,1] op_sel_hi:[1,0,0] neg_lo:[0,0,1] neg_hi:[0,0,1]
	v_mov_b32_e32 v246, v26
	v_mov_b32_e32 v247, v249
	v_pk_add_f32 v[246:247], v[246:247], v[252:253]
	ds_write2_b64 v18, v[254:255], v[246:247] offset0:4 offset1:5
	v_pk_mul_f32 v[246:247], v[100:101], s[36:37] op_sel_hi:[1,0]
	v_pk_fma_f32 v[94:95], v[94:95], s[18:19], v[96:97] op_sel:[0,0,1] op_sel_hi:[1,0,0] neg_lo:[0,0,1] neg_hi:[0,0,1]
	v_pk_fma_f32 v[252:253], v[98:99], s[16:17], v[246:247] op_sel:[0,0,1] op_sel_hi:[1,0,0]
	v_pk_fma_f32 v[246:247], v[98:99], s[16:17], v[246:247] op_sel:[0,0,1] op_sel_hi:[1,0,0] neg_lo:[0,0,1] neg_hi:[0,0,1]
	v_mov_b32_e32 v254, v252
	v_mov_b32_e32 v255, v247
	v_pk_add_f32 v[254:255], v[0:1], v[254:255]
	v_mov_b32_e32 v247, v253
	v_pk_add_f32 v[40:41], v[40:41], v[254:255]
	v_pk_mul_f32 v[254:255], v[92:93], s[2:3] op_sel_hi:[1,0]
	v_pk_mul_f32 v[92:93], v[92:93], s[28:29] op_sel_hi:[1,0]
	v_pk_fma_f32 v[52:53], v[90:91], s[10:11], v[254:255] op_sel:[0,0,1] op_sel_hi:[1,0,0]
	v_pk_fma_f32 v[254:255], v[90:91], s[10:11], v[254:255] op_sel:[0,0,1] op_sel_hi:[1,0,0] neg_lo:[0,0,1] neg_hi:[0,0,1]
	v_mov_b32_e32 v224, v52
	v_mov_b32_e32 v225, v255
	v_pk_add_f32 v[40:41], v[224:225], v[40:41]
	v_pk_mul_f32 v[224:225], v[128:129], s[34:35] op_sel_hi:[1,0]
	v_mov_b32_e32 v193, v11
	v_pk_fma_f32 v[64:65], v[126:127], s[12:13], v[224:225] op_sel:[0,0,1] op_sel_hi:[1,0,0]
	v_pk_fma_f32 v[224:225], v[126:127], s[12:13], v[224:225] op_sel:[0,0,1] op_sel_hi:[1,0,0] neg_lo:[0,0,1] neg_hi:[0,0,1]
	v_mov_b32_e32 v58, v64
	v_mov_b32_e32 v59, v225
	v_pk_add_f32 v[40:41], v[58:59], v[40:41]
	v_pk_mul_f32 v[58:59], v[140:141], s[38:39] op_sel_hi:[1,0]
	v_pk_add_f32 v[10:11], v[0:1], v[246:247]
	v_pk_fma_f32 v[76:77], v[138:139], s[22:23], v[58:59] op_sel:[0,0,1] op_sel_hi:[1,0,0]
	v_pk_fma_f32 v[58:59], v[138:139], s[22:23], v[58:59] op_sel:[0,0,1] op_sel_hi:[1,0,0] neg_lo:[0,0,1] neg_hi:[0,0,1]
	v_mov_b32_e32 v70, v76
	v_mov_b32_e32 v71, v59
	v_pk_add_f32 v[40:41], v[70:71], v[40:41]
	v_pk_mul_f32 v[70:71], v[144:145], s[30:31] op_sel_hi:[1,0]
	v_pk_add_f32 v[10:11], v[192:193], v[10:11]
	v_pk_fma_f32 v[38:39], v[142:143], s[14:15], v[70:71] op_sel:[0,0,1] op_sel_hi:[1,0,0]
	v_pk_fma_f32 v[70:71], v[142:143], s[14:15], v[70:71] op_sel:[0,0,1] op_sel_hi:[1,0,0] neg_lo:[0,0,1] neg_hi:[0,0,1]
	v_mov_b32_e32 v84, v38
	v_mov_b32_e32 v85, v71
	v_pk_add_f32 v[40:41], v[84:85], v[40:41]
	v_pk_mul_f32 v[84:85], v[148:149], s[26:27] op_sel_hi:[1,0]
	v_mov_b32_e32 v255, v53
	v_pk_fma_f32 v[6:7], v[146:147], s[8:9], v[84:85] op_sel:[0,0,1] op_sel_hi:[1,0,0]
	v_pk_fma_f32 v[84:85], v[146:147], s[8:9], v[84:85] op_sel:[0,0,1] op_sel_hi:[1,0,0] neg_lo:[0,0,1] neg_hi:[0,0,1]
	v_mov_b32_e32 v32, v6
	v_mov_b32_e32 v33, v85
	v_pk_add_f32 v[32:33], v[32:33], v[40:41]
	v_pk_mul_f32 v[40:41], v[160:161], s[40:41] op_sel_hi:[1,0]
	v_pk_add_f32 v[10:11], v[254:255], v[10:11]
	v_pk_fma_f32 v[4:5], v[154:155], s[18:19], v[40:41] op_sel:[0,0,1] op_sel_hi:[1,0,0]
	v_pk_fma_f32 v[40:41], v[154:155], s[18:19], v[40:41] op_sel:[0,0,1] op_sel_hi:[1,0,0] neg_lo:[0,0,1] neg_hi:[0,0,1]
	v_mov_b32_e32 v2, v4
	v_mov_b32_e32 v3, v41
	v_pk_add_f32 v[2:3], v[2:3], v[32:33]
	v_pk_mul_f32 v[32:33], v[100:101], s[34:35] op_sel_hi:[1,0]
	v_mov_b32_e32 v225, v65
	v_pk_fma_f32 v[100:101], v[98:99], s[12:13], v[32:33] op_sel:[0,0,1] op_sel_hi:[1,0,0]
	v_pk_fma_f32 v[32:33], v[98:99], s[12:13], v[32:33] op_sel:[0,0,1] op_sel_hi:[1,0,0] neg_lo:[0,0,1] neg_hi:[0,0,1]
	v_mov_b32_e32 v96, v100
	v_mov_b32_e32 v97, v33
	v_pk_add_f32 v[96:97], v[0:1], v[96:97]
	v_mov_b32_e32 v98, v42
	v_mov_b32_e32 v99, v95
	v_pk_add_f32 v[96:97], v[98:99], v[96:97]
	v_pk_fma_f32 v[98:99], v[90:91], s[22:23], v[92:93] op_sel:[0,0,1] op_sel_hi:[1,0,0]
	v_pk_fma_f32 v[90:91], v[90:91], s[22:23], v[92:93] op_sel:[0,0,1] op_sel_hi:[1,0,0] neg_lo:[0,0,1] neg_hi:[0,0,1]
	v_mov_b32_e32 v92, v98
	v_mov_b32_e32 v93, v91
	v_pk_add_f32 v[92:93], v[92:93], v[96:97]
	v_pk_mul_f32 v[96:97], v[128:129], s[48:49] op_sel_hi:[1,0]
	v_mov_b32_e32 v33, v101
	v_pk_fma_f32 v[128:129], v[126:127], s[16:17], v[96:97] op_sel:[0,0,1] op_sel_hi:[1,0,0]
	v_pk_fma_f32 v[96:97], v[126:127], s[16:17], v[96:97] op_sel:[0,0,1] op_sel_hi:[1,0,0] neg_lo:[0,0,1] neg_hi:[0,0,1]
	v_mov_b32_e32 v126, v128
	v_mov_b32_e32 v127, v97
	v_pk_add_f32 v[92:93], v[126:127], v[92:93]
	v_pk_mul_f32 v[126:127], v[140:141], s[2:3] op_sel_hi:[1,0]
	v_mov_b32_e32 v95, v43
	;; [unrolled: 7-line block ×5, first 2 shown]
	v_pk_fma_f32 v[160:161], v[154:155], s[20:21], v[146:147] op_sel:[0,0,1] op_sel_hi:[1,0,0]
	v_pk_fma_f32 v[146:147], v[154:155], s[20:21], v[146:147] op_sel:[0,0,1] op_sel_hi:[1,0,0] neg_lo:[0,0,1] neg_hi:[0,0,1]
	v_mov_b32_e32 v154, v160
	v_mov_b32_e32 v155, v147
	v_pk_add_f32 v[92:93], v[154:155], v[92:93]
	ds_write2_b64 v18, v[2:3], v[92:93] offset0:6 offset1:7
	v_pk_add_f32 v[2:3], v[0:1], v[32:33]
	v_pk_add_f32 v[10:11], v[224:225], v[10:11]
	;; [unrolled: 1-line block ×3, first 2 shown]
	v_mov_b32_e32 v59, v77
	v_pk_add_f32 v[2:3], v[90:91], v[2:3]
	v_mov_b32_e32 v139, v145
	v_pk_add_f32 v[2:3], v[96:97], v[2:3]
	v_pk_add_f32 v[10:11], v[58:59], v[10:11]
	;; [unrolled: 1-line block ×3, first 2 shown]
	v_mov_b32_e32 v71, v39
	v_pk_add_f32 v[2:3], v[138:139], v[2:3]
	v_mov_b32_e32 v143, v149
	v_pk_add_f32 v[10:11], v[70:71], v[10:11]
	;; [unrolled: 2-line block ×5, first 2 shown]
	v_pk_add_f32 v[4:5], v[40:41], v[6:7]
	ds_write2_b64 v18, v[2:3], v[4:5] offset0:10 offset1:11
	v_pk_mul_f32 v[4:5], v[54:55], s[12:13]
	v_pk_mul_f32 v[2:3], v[44:45], s[8:9]
	v_pk_add_f32 v[4:5], v[14:15], v[4:5] neg_lo:[0,1] neg_hi:[0,1]
	v_pk_add_f32 v[2:3], v[22:23], v[2:3] neg_lo:[0,1] neg_hi:[0,1]
	v_mov_b32_e32 v57, v5
	v_pk_mul_f32 v[4:5], v[60:61], s[14:15]
	v_mov_b32_e32 v47, v3
	v_pk_add_f32 v[4:5], v[114:115], v[4:5] neg_lo:[0,1] neg_hi:[0,1]
	v_pk_mul_f32 v[2:3], v[48:49], s[10:11]
	v_mov_b32_e32 v63, v5
	v_pk_mul_f32 v[4:5], v[66:67], s[16:17]
	v_pk_add_f32 v[2:3], v[102:103], v[2:3] neg_lo:[0,1] neg_hi:[0,1]
	v_pk_add_f32 v[4:5], v[106:107], v[4:5] neg_lo:[0,1] neg_hi:[0,1]
	v_accvgpr_read_b32 v6, a18
	v_mov_b32_e32 v51, v3
	v_pk_add_f32 v[2:3], v[0:1], v[46:47]
	v_mov_b32_e32 v69, v5
	v_pk_mul_f32 v[4:5], v[72:73], s[18:19]
	v_accvgpr_read_b32 v7, a19
	v_pk_add_f32 v[2:3], v[50:51], v[2:3]
	v_pk_add_f32 v[4:5], v[6:7], v[4:5] neg_lo:[0,1] neg_hi:[0,1]
	v_accvgpr_read_b32 v6, a20
	v_pk_add_f32 v[2:3], v[56:57], v[2:3]
	v_mov_b32_e32 v75, v5
	v_pk_mul_f32 v[4:5], v[80:81], s[20:21]
	v_accvgpr_read_b32 v7, a21
	v_pk_add_f32 v[2:3], v[62:63], v[2:3]
	v_pk_add_f32 v[4:5], v[6:7], v[4:5] neg_lo:[0,1] neg_hi:[0,1]
	v_pk_add_f32 v[2:3], v[68:69], v[2:3]
	v_mov_b32_e32 v83, v5
	v_pk_mul_f32 v[4:5], v[86:87], s[22:23]
	v_pk_add_f32 v[2:3], v[74:75], v[2:3]
	v_pk_add_f32 v[4:5], v[110:111], v[4:5] neg_lo:[0,1] neg_hi:[0,1]
	v_accvgpr_read_b32 v77, a3
	v_pk_add_f32 v[2:3], v[82:83], v[2:3]
	v_mov_b32_e32 v89, v5
	v_accvgpr_read_b32 v76, a2
	v_pk_add_f32 v[2:3], v[88:89], v[2:3]
	v_mov_b32_e32 v219, v221
	v_mov_b32_e32 v187, v189
	ds_write2_b64 v18, v[2:3], v[76:77] offset0:8 offset1:9
	v_mov_b32_e32 v223, v31
	v_pk_add_f32 v[2:3], v[0:1], v[218:219]
	v_mov_b32_e32 v191, v119
	v_pk_add_f32 v[4:5], v[0:1], v[186:187]
	v_pk_add_f32 v[2:3], v[222:223], v[2:3]
	v_mov_b32_e32 v229, v227
	v_pk_add_f32 v[4:5], v[190:191], v[4:5]
	v_mov_b32_e32 v197, v195
	;; [unrolled: 2-line block ×12, first 2 shown]
	v_pk_add_f32 v[2:3], v[248:249], v[2:3]
	v_pk_add_f32 v[4:5], v[216:217], v[4:5]
	v_mov_b32_e32 v153, v151
	v_mov_b32_e32 v105, v17
	ds_write2_b64 v18, v[2:3], v[4:5] offset0:12 offset1:13
	v_pk_add_f32 v[2:3], v[0:1], v[152:153]
	v_mov_b32_e32 v159, v157
	v_pk_add_f32 v[4:5], v[0:1], v[104:105]
	v_mov_b32_e32 v109, v21
	;; [unrolled: 2-line block ×14, first 2 shown]
	v_pk_add_f32 v[2:3], v[184:185], v[2:3]
	v_pk_add_f32 v[4:5], v[136:137], v[4:5]
	ds_write2_b64 v18, v[2:3], v[4:5] offset0:14 offset1:15
	v_accvgpr_read_b32 v2, a4
	v_accvgpr_read_b32 v3, a5
	v_mov_b32_e32 v70, v9
	v_pk_add_f32 v[0:1], v[0:1], v[2:3]
	v_accvgpr_read_b32 v9, a7
	v_mov_b32_e32 v71, v13
	v_pk_add_f32 v[0:1], v[8:9], v[0:1]
	v_accvgpr_read_b32 v13, a9
	v_pk_add_f32 v[0:1], v[12:13], v[0:1]
	v_accvgpr_read_b32 v17, a11
	v_pk_add_f32 v[0:1], v[16:17], v[0:1]
	v_mov_b32_e32 v21, v19
	v_pk_add_f32 v[0:1], v[20:21], v[0:1]
	v_accvgpr_read_b32 v25, a13
	v_pk_add_f32 v[0:1], v[24:25], v[0:1]
	v_accvgpr_read_b32 v29, a15
	v_accvgpr_read_b32 v65, a1
	v_pk_add_f32 v[0:1], v[28:29], v[0:1]
	v_accvgpr_read_b32 v79, a17
	v_accvgpr_read_b32 v64, a0
	v_pk_add_f32 v[0:1], v[78:79], v[0:1]
	ds_write_b64 v18, v[0:1] offset:128
.LBB0_21:
	s_or_b64 exec, exec, s[6:7]
	s_movk_i32 s2, 0xf1
	v_mul_lo_u16_sdwa v0, v34, s2 dst_sel:DWORD dst_unused:UNUSED_PAD src0_sel:BYTE_0 src1_sel:DWORD
	v_lshrrev_b16_e32 v49, 12, v0
	v_mul_lo_u16_e32 v0, 17, v49
	v_sub_u16_e32 v38, v34, v0
	v_mov_b32_e32 v0, 6
	v_lshlrev_b32_sdwa v16, v0, v38 dst_sel:DWORD dst_unused:UNUSED_PAD src0_sel:DWORD src1_sel:BYTE_0
	s_waitcnt lgkmcnt(0)
	s_barrier
	global_load_dwordx4 v[0:3], v16, s[4:5]
	global_load_dwordx4 v[4:7], v16, s[4:5] offset:48
	global_load_dwordx4 v[8:11], v16, s[4:5] offset:16
	;; [unrolled: 1-line block ×3, first 2 shown]
	ds_read2_b64 v[20:23], v250 offset1:102
	ds_read2_b64 v[16:19], v71 offset0:76 offset1:178
	ds_read2_b64 v[24:27], v251 offset0:152 offset1:254
	;; [unrolled: 1-line block ×3, first 2 shown]
	ds_read_b64 v[32:33], v250 offset:6528
	v_mov_b32_e32 v39, 3
	v_lshlrev_b32_sdwa v59, v39, v38 dst_sel:DWORD dst_unused:UNUSED_PAD src0_sel:DWORD src1_sel:BYTE_0
	s_waitcnt lgkmcnt(3)
	v_mov_b32_e32 v38, v19
	s_mov_b32 s14, 0x3f248dbb
	s_mov_b32 s15, 0x3f7c1c5c
	;; [unrolled: 1-line block ×9, first 2 shown]
	s_waitcnt lgkmcnt(0)
	s_barrier
	s_waitcnt vmcnt(3)
	v_mul_f32_e32 v40, v1, v23
	v_mul_f32_e32 v1, v1, v22
	;; [unrolled: 1-line block ×4, first 2 shown]
	s_waitcnt vmcnt(2)
	v_mov_b32_e32 v44, v5
	v_pk_mul_f32 v[46:47], v[30:31], v[4:5] op_sel:[1,0] op_sel_hi:[0,1]
	v_mov_b32_e32 v48, v7
	v_pk_mul_f32 v[50:51], v[32:33], v[6:7] op_sel:[1,0] op_sel_hi:[0,1]
	s_waitcnt vmcnt(1)
	v_pk_mul_f32 v[52:53], v[8:9], v[18:19] op_sel_hi:[1,0]
	v_pk_mul_f32 v[54:55], v[10:11], v[24:25] op_sel:[0,1]
	s_waitcnt vmcnt(0)
	v_mov_b32_e32 v58, v15
	v_fmac_f32_e32 v40, v0, v22
	v_fma_f32 v41, v0, v23, -v1
	v_fmac_f32_e32 v42, v2, v16
	v_fma_f32 v43, v2, v17, -v3
	v_pk_mul_f32 v[0:1], v[30:31], v[44:45] op_sel:[1,0] op_sel_hi:[0,1]
	v_mov_b32_e32 v3, v46
	v_pk_mul_f32 v[16:17], v[32:33], v[48:49] op_sel:[1,0] op_sel_hi:[0,1]
	v_mov_b32_e32 v23, v50
	v_pk_mul_f32 v[56:57], v[12:13], v[26:27] op_sel:[0,1]
	v_pk_fma_f32 v[38:39], v[8:9], v[38:39], v[52:53] op_sel:[1,0,0] op_sel_hi:[0,1,1]
	v_pk_fma_f32 v[8:9], v[8:9], v[18:19], v[52:53] op_sel:[1,1,0] op_sel_hi:[0,1,1] neg_lo:[0,0,1] neg_hi:[0,0,1]
	v_pk_fma_f32 v[44:45], v[10:11], v[24:25], v[54:55] op_sel:[0,0,1] op_sel_hi:[1,1,0]
	v_pk_fma_f32 v[10:11], v[10:11], v[24:25], v[54:55] op_sel:[0,0,1] op_sel_hi:[1,0,0] neg_lo:[1,0,0] neg_hi:[1,0,0]
	v_pk_mul_f32 v[18:19], v[28:29], v[58:59] op_sel_hi:[1,0]
	v_pk_fma_f32 v[0:1], v[30:31], v[4:5], v[0:1]
	v_pk_fma_f32 v[2:3], v[30:31], v[4:5], v[2:3] op_sel:[1,0,0] op_sel_hi:[0,1,1] neg_lo:[1,0,0] neg_hi:[1,0,0]
	v_pk_fma_f32 v[4:5], v[32:33], v[6:7], v[16:17]
	v_pk_fma_f32 v[6:7], v[32:33], v[6:7], v[22:23] op_sel:[1,0,0] op_sel_hi:[0,1,1] neg_lo:[1,0,0] neg_hi:[1,0,0]
	v_pk_fma_f32 v[24:25], v[12:13], v[26:27], v[56:57] op_sel:[0,0,1] op_sel_hi:[1,1,0]
	v_pk_fma_f32 v[12:13], v[12:13], v[26:27], v[56:57] op_sel:[0,0,1] op_sel_hi:[1,0,0] neg_lo:[1,0,0] neg_hi:[1,0,0]
	v_mov_b32_e32 v39, v9
	v_mov_b32_e32 v45, v11
	v_pk_fma_f32 v[8:9], v[28:29], v[14:15], v[18:19] op_sel:[0,0,1] op_sel_hi:[1,1,0]
	v_pk_fma_f32 v[10:11], v[28:29], v[14:15], v[18:19] op_sel:[0,0,1] op_sel_hi:[1,0,0] neg_lo:[0,0,1] neg_hi:[0,0,1]
	v_mov_b32_e32 v14, v43
	v_mov_b32_e32 v15, v40
	;; [unrolled: 1-line block ×12, first 2 shown]
	v_pk_add_f32 v[4:5], v[40:41], v[4:5]
	v_pk_add_f32 v[2:3], v[14:15], v[2:3] neg_lo:[0,1] neg_hi:[0,1]
	v_pk_add_f32 v[0:1], v[42:43], v[0:1]
	v_pk_add_f32 v[26:27], v[38:39], v[8:9]
	v_pk_add_f32 v[6:7], v[12:13], v[6:7] neg_lo:[0,1] neg_hi:[0,1]
	v_pk_add_f32 v[8:9], v[38:39], v[8:9] neg_lo:[0,1] neg_hi:[0,1]
	v_pk_mul_f32 v[12:13], v[2:3], s[16:17]
	v_pk_fma_f32 v[14:15], v[4:5], s[8:9], v[20:21] op_sel_hi:[1,0,1]
	v_pk_mul_f32 v[8:9], v[8:9], s[2:3] op_sel_hi:[1,0]
	v_pk_fma_f32 v[12:13], v[6:7], s[14:15], v[12:13]
	v_pk_fma_f32 v[14:15], v[0:1], s[10:11], v[14:15] op_sel_hi:[1,0,1]
	v_pk_add_f32 v[10:11], v[44:45], v[24:25] neg_lo:[0,1] neg_hi:[0,1]
	v_pk_add_f32 v[22:23], v[44:45], v[24:25]
	v_pk_add_f32 v[12:13], v[8:9], v[12:13] op_sel:[1,0] op_sel_hi:[0,1]
	v_pk_fma_f32 v[14:15], v[26:27], 0.5, v[14:15] op_sel_hi:[1,0,1] neg_lo:[1,0,0] neg_hi:[1,0,0]
	v_pk_fma_f32 v[12:13], v[10:11], s[6:7], v[12:13] op_sel:[1,0,0] op_sel_hi:[0,0,1]
	v_pk_fma_f32 v[14:15], v[22:23], s[12:13], v[14:15] op_sel_hi:[1,0,1] neg_lo:[1,0,0] neg_hi:[1,0,0]
	s_mov_b32 s14, 0xbf248dbb
	v_pk_add_f32 v[28:29], v[14:15], v[12:13] neg_lo:[0,1] neg_hi:[0,1]
	v_pk_add_f32 v[14:15], v[14:15], v[12:13]
	v_pk_add_f32 v[32:33], v[26:27], v[20:21]
	v_mov_b32_e32 v29, v15
	v_pk_fma_f32 v[16:17], v[12:13], 2.0, v[28:29] op_sel_hi:[1,0,1]
	v_pk_fma_f32 v[18:19], v[12:13], 2.0, v[28:29] op_sel_hi:[1,0,1] neg_lo:[1,0,0] neg_hi:[1,0,0]
	v_mul_u32_u24_e32 v12, 0x4c8, v49
	v_add3_u32 v18, 0, v12, v59
	v_pk_add_f32 v[12:13], v[0:1], v[4:5]
	v_mov_b32_e32 v17, v19
	v_pk_add_f32 v[14:15], v[26:27], v[12:13]
	v_pk_add_f32 v[12:13], v[22:23], v[12:13]
	;; [unrolled: 1-line block ×3, first 2 shown]
	v_pk_fma_f32 v[12:13], v[12:13], 0.5, v[32:33] op_sel_hi:[1,0,1] neg_lo:[1,0,0] neg_hi:[1,0,0]
	v_pk_add_f32 v[14:15], v[24:25], v[14:15]
	v_mov_b32_e32 v24, v6
	v_pk_add_f32 v[14:15], v[20:21], v[14:15]
	ds_write2_b64 v18, v[14:15], v[28:29] offset1:17
	v_pk_mul_f32 v[14:15], v[10:11], s[14:15] op_sel:[1,0] op_sel_hi:[0,0]
	v_mov_b32_e32 v25, v3
	v_pk_fma_f32 v[14:15], v[24:25], s[16:17], v[14:15] op_sel_hi:[1,0,1]
	v_mov_b32_e32 v3, v7
	v_pk_add_f32 v[14:15], v[14:15], v[8:9] op_sel:[0,1] op_sel_hi:[1,0] neg_lo:[0,1] neg_hi:[0,1]
	s_nop 0
	v_pk_fma_f32 v[6:7], v[2:3], s[6:7], v[14:15] op_sel_hi:[1,0,1]
	v_pk_fma_f32 v[14:15], v[22:23], s[8:9], v[20:21] op_sel_hi:[1,0,1]
	s_nop 0
	v_pk_fma_f32 v[14:15], v[4:5], s[10:11], v[14:15] op_sel_hi:[1,0,1]
	s_nop 0
	v_pk_fma_f32 v[14:15], v[26:27], 0.5, v[14:15] op_sel_hi:[1,0,1] neg_lo:[1,0,0] neg_hi:[1,0,0]
	s_nop 0
	v_pk_fma_f32 v[14:15], v[0:1], s[12:13], v[14:15] op_sel_hi:[1,0,1] neg_lo:[1,0,0] neg_hi:[1,0,0]
	v_pk_fma_f32 v[0:1], v[0:1], s[8:9], v[20:21] op_sel_hi:[1,0,1]
	v_pk_add_f32 v[28:29], v[14:15], v[6:7] neg_lo:[0,1] neg_hi:[0,1]
	v_pk_add_f32 v[14:15], v[14:15], v[6:7]
	v_pk_fma_f32 v[0:1], v[22:23], s[10:11], v[0:1] op_sel_hi:[1,0,1]
	v_fma_f32 v14, 2.0, v6, v28
	v_mov_b32_e32 v29, v15
	v_fmac_f32_e32 v15, -2.0, v7
	v_pk_add_f32 v[6:7], v[10:11], v[24:25] op_sel:[1,0] op_sel_hi:[0,1]
	v_pk_mul_f32 v[10:11], v[10:11], s[16:17] op_sel:[1,0] op_sel_hi:[0,0]
	v_pk_add_f32 v[6:7], v[6:7], v[2:3] neg_lo:[0,1] neg_hi:[0,1]
	v_pk_fma_f32 v[2:3], v[2:3], s[14:15], v[10:11] op_sel_hi:[1,0,1] neg_lo:[0,0,1] neg_hi:[0,0,1]
	v_pk_fma_f32 v[0:1], v[26:27], 0.5, v[0:1] op_sel_hi:[1,0,1] neg_lo:[1,0,0] neg_hi:[1,0,0]
	v_pk_add_f32 v[2:3], v[8:9], v[2:3] op_sel:[1,0] op_sel_hi:[0,1]
	v_pk_fma_f32 v[2:3], v[24:25], s[6:7], v[2:3] op_sel_hi:[1,0,1]
	v_pk_fma_f32 v[0:1], v[4:5], s[12:13], v[0:1] op_sel_hi:[1,0,1] neg_lo:[1,0,0] neg_hi:[1,0,0]
	v_pk_mul_f32 v[30:31], v[6:7], s[2:3] op_sel_hi:[1,0]
	v_pk_fma_f32 v[32:33], v[6:7], s[2:3], v[12:13] op_sel_hi:[1,0,1] neg_lo:[1,0,0] neg_hi:[1,0,0]
	v_pk_fma_f32 v[6:7], v[6:7], s[2:3], v[12:13] op_sel_hi:[1,0,1]
	v_pk_add_f32 v[4:5], v[0:1], v[2:3] neg_lo:[0,1] neg_hi:[0,1]
	v_pk_add_f32 v[0:1], v[0:1], v[2:3]
	v_mov_b32_e32 v33, v7
	v_fma_f32 v0, 2.0, v2, v4
	v_mov_b32_e32 v5, v1
	v_fmac_f32_e32 v1, -2.0, v3
	v_fma_f32 v6, 2.0, v30, v32
	v_fmac_f32_e32 v7, -2.0, v31
	ds_write2_b64 v18, v[28:29], v[32:33] offset0:34 offset1:51
	ds_write2_b64 v18, v[4:5], v[0:1] offset0:68 offset1:85
	;; [unrolled: 1-line block ×3, first 2 shown]
	v_add_u32_e32 v4, 0xc00, v250
	ds_write_b64 v18, v[16:17] offset:1088
	s_waitcnt lgkmcnt(0)
	s_barrier
	ds_read2_b64 v[0:3], v250 offset1:102
	ds_read2_b64 v[8:11], v4 offset0:75 offset1:177
	ds_read2_b64 v[4:7], v71 offset0:76 offset1:178
	;; [unrolled: 1-line block ×3, first 2 shown]
	s_and_saveexec_b64 s[2:3], vcc
	s_cbranch_execz .LBB0_23
; %bb.22:
	ds_read_b64 v[16:17], v250 offset:3264
	ds_read_b64 v[76:77], v250 offset:6936
	s_waitcnt lgkmcnt(1)
	v_mov_b32_e32 v19, v17
.LBB0_23:
	s_or_b64 exec, exec, s[2:3]
	v_add_u32_e32 v22, 0x66, v34
	v_add_u32_e32 v17, 0x132, v34
	v_subrev_u32_e32 v18, 51, v34
	s_movk_i32 s6, 0x358b
	v_lshl_add_u64 v[24:25], v[36:37], 3, s[4:5]
	v_cndmask_b32_e32 v20, v18, v22, vcc
	v_mul_u32_u24_sdwa v18, v17, s6 dst_sel:DWORD dst_unused:UNUSED_PAD src0_sel:WORD_0 src1_sel:DWORD
	global_load_dwordx2 v[24:25], v[24:25], off offset:1088
	v_lshrrev_b32_e32 v18, 21, v18
	v_mul_lo_u16_e32 v18, 0x99, v18
	v_sub_u16_e32 v17, v17, v18
	v_mov_b32_e32 v21, 0
	v_lshlrev_b32_e32 v17, 3, v17
	v_lshl_add_u64 v[26:27], v[20:21], 3, s[4:5]
	v_lshl_add_u64 v[28:29], v[34:35], 3, s[4:5]
	global_load_dwordx2 v[30:31], v17, s[4:5] offset:1088
	global_load_dwordx2 v[32:33], v[28:29], off offset:1496
	global_load_dwordx2 v[36:37], v[26:27], off offset:1088
	s_waitcnt lgkmcnt(0)
	s_barrier
	v_mov_b32_e32 v23, 0x990
	v_cmp_lt_u32_e64 s[2:3], 50, v34
	v_lshlrev_b32_e32 v20, 3, v20
	v_add_u32_e32 v18, 0x800, v250
	v_cndmask_b32_e64 v23, 0, v23, s[2:3]
	v_add3_u32 v20, 0, v23, v20
	v_add_u32_e32 v17, 0, v17
	v_add_u32_e32 v17, 0x1000, v17
	s_waitcnt vmcnt(3)
	v_pk_mul_f32 v[26:27], v[24:25], v[8:9] op_sel:[0,1]
	s_nop 0
	v_pk_fma_f32 v[28:29], v[24:25], v[8:9], v[26:27] op_sel:[0,0,1] op_sel_hi:[1,1,0]
	v_pk_fma_f32 v[8:9], v[24:25], v[8:9], v[26:27] op_sel:[0,0,1] op_sel_hi:[1,0,0] neg_lo:[1,0,0] neg_hi:[1,0,0]
	s_waitcnt vmcnt(2)
	v_pk_mul_f32 v[24:25], v[30:31], v[14:15] op_sel:[0,1]
	v_mov_b32_e32 v29, v9
	v_pk_add_f32 v[8:9], v[0:1], v[28:29] neg_lo:[0,1] neg_hi:[0,1]
	s_waitcnt vmcnt(0)
	v_pk_mul_f32 v[28:29], v[36:37], v[10:11] op_sel:[0,1]
	v_pk_fma_f32 v[0:1], v[0:1], 2.0, v[8:9] op_sel_hi:[1,0,1] neg_lo:[0,0,1] neg_hi:[0,0,1]
	v_pk_mul_f32 v[26:27], v[32:33], v[12:13] op_sel:[0,1]
	ds_write2_b64 v250, v[0:1], v[8:9] offset1:153
	v_pk_fma_f32 v[0:1], v[30:31], v[14:15], v[24:25] op_sel:[0,0,1] op_sel_hi:[1,1,0]
	v_pk_fma_f32 v[8:9], v[30:31], v[14:15], v[24:25] op_sel:[0,0,1] op_sel_hi:[1,0,0] neg_lo:[1,0,0] neg_hi:[1,0,0]
	v_pk_fma_f32 v[24:25], v[36:37], v[10:11], v[28:29] op_sel:[0,0,1] op_sel_hi:[1,1,0]
	v_pk_fma_f32 v[10:11], v[36:37], v[10:11], v[28:29] op_sel:[0,0,1] op_sel_hi:[1,0,0] neg_lo:[1,0,0] neg_hi:[1,0,0]
	;; [unrolled: 2-line block ×3, first 2 shown]
	v_mov_b32_e32 v25, v11
	v_mov_b32_e32 v1, v9
	;; [unrolled: 1-line block ×3, first 2 shown]
	v_pk_add_f32 v[10:11], v[2:3], v[24:25] neg_lo:[0,1] neg_hi:[0,1]
	v_pk_add_f32 v[0:1], v[6:7], v[0:1] neg_lo:[0,1] neg_hi:[0,1]
	;; [unrolled: 1-line block ×3, first 2 shown]
	v_pk_fma_f32 v[2:3], v[2:3], 2.0, v[10:11] op_sel_hi:[1,0,1] neg_lo:[0,0,1] neg_hi:[0,0,1]
	v_pk_fma_f32 v[6:7], v[6:7], 2.0, v[0:1] op_sel_hi:[1,0,1] neg_lo:[0,0,1] neg_hi:[0,0,1]
	;; [unrolled: 1-line block ×3, first 2 shown]
	ds_write2_b64 v20, v[2:3], v[10:11] offset1:153
	ds_write2_b64 v18, v[4:5], v[8:9] offset0:101 offset1:254
	ds_write2_b64 v17, v[6:7], v[0:1] offset0:100 offset1:253
	s_and_saveexec_b64 s[2:3], vcc
	s_cbranch_execz .LBB0_25
; %bb.24:
	v_add_u32_e32 v0, 0x198, v34
	v_mul_u32_u24_sdwa v1, v0, s6 dst_sel:DWORD dst_unused:UNUSED_PAD src0_sel:WORD_0 src1_sel:DWORD
	v_lshrrev_b32_e32 v1, 21, v1
	v_mul_lo_u16_e32 v1, 0x99, v1
	v_sub_u16_e32 v0, v0, v1
	v_lshlrev_b32_e32 v3, 3, v0
	global_load_dwordx2 v[0:1], v3, s[4:5] offset:1088
	v_mov_b32_e32 v2, v77
	v_add_u32_e32 v6, 0, v3
	v_mov_b32_e32 v17, v19
	s_waitcnt vmcnt(0)
	v_pk_mul_f32 v[2:3], v[2:3], v[0:1] op_sel_hi:[0,1]
	v_pk_fma_f32 v[4:5], v[76:77], v[0:1], v[2:3] op_sel:[0,0,1] op_sel_hi:[1,1,0]
	v_pk_fma_f32 v[0:1], v[76:77], v[0:1], v[2:3] op_sel:[0,0,1] op_sel_hi:[0,1,0] neg_lo:[1,0,0] neg_hi:[1,0,0]
	v_mov_b32_e32 v5, v1
	v_pk_add_f32 v[0:1], v[16:17], v[4:5] neg_lo:[0,1] neg_hi:[0,1]
	v_add_u32_e32 v4, 0x1000, v6
	v_pk_fma_f32 v[2:3], v[16:17], 2.0, v[0:1] op_sel_hi:[1,0,1] neg_lo:[0,0,1] neg_hi:[0,0,1]
	ds_write2_b64 v4, v[2:3], v[0:1] offset0:100 offset1:253
.LBB0_25:
	s_or_b64 exec, exec, s[2:3]
	v_lshlrev_b32_e32 v20, 1, v34
	v_lshl_add_u64 v[0:1], v[20:21], 3, s[4:5]
	v_lshlrev_b32_e32 v4, 1, v22
	v_mov_b32_e32 v5, v21
	s_waitcnt lgkmcnt(0)
	s_barrier
	global_load_dwordx4 v[0:3], v[0:1], off offset:2312
	v_lshl_add_u64 v[4:5], v[4:5], 3, s[4:5]
	global_load_dwordx4 v[4:7], v[4:5], off offset:2312
	v_add_u32_e32 v20, 0x198, v20
	v_lshl_add_u64 v[8:9], v[20:21], 3, s[4:5]
	global_load_dwordx4 v[8:11], v[8:9], off offset:2312
	v_add_u32_e32 v19, 0x400, v250
	v_add_u32_e32 v35, 0x1000, v250
	ds_read2_b64 v[12:15], v18 offset0:152 offset1:254
	ds_read2_b64 v[20:23], v250 offset1:102
	ds_read_b64 v[16:17], v250 offset:6528
	ds_read2_b64 v[24:27], v19 offset0:76 offset1:178
	ds_read2_b64 v[28:31], v35 offset0:100 offset1:202
	s_mov_b32 s2, 0x3f5db3d7
	s_waitcnt lgkmcnt(0)
	s_barrier
	s_waitcnt vmcnt(2)
	v_pk_mul_f32 v[32:33], v[0:1], v[26:27] op_sel:[0,1]
	v_pk_mul_f32 v[36:37], v[2:3], v[28:29] op_sel:[0,1]
	s_waitcnt vmcnt(1)
	v_pk_mul_f32 v[38:39], v[4:5], v[12:13] op_sel:[0,1]
	v_pk_mul_f32 v[40:41], v[6:7], v[30:31] op_sel:[0,1]
	v_pk_fma_f32 v[42:43], v[0:1], v[26:27], v[32:33] op_sel:[0,0,1] op_sel_hi:[1,1,0]
	v_pk_fma_f32 v[0:1], v[0:1], v[26:27], v[32:33] op_sel:[0,0,1] op_sel_hi:[1,0,0] neg_lo:[1,0,0] neg_hi:[1,0,0]
	v_pk_fma_f32 v[26:27], v[2:3], v[28:29], v[36:37] op_sel:[0,0,1] op_sel_hi:[1,1,0]
	v_pk_fma_f32 v[2:3], v[2:3], v[28:29], v[36:37] op_sel:[0,0,1] op_sel_hi:[1,0,0] neg_lo:[1,0,0] neg_hi:[1,0,0]
	;; [unrolled: 2-line block ×4, first 2 shown]
	s_waitcnt vmcnt(0)
	v_pk_mul_f32 v[30:31], v[8:9], v[14:15] op_sel:[0,1]
	v_mov_b32_e32 v0, v11
	v_mov_b32_e32 v43, v1
	;; [unrolled: 1-line block ×5, first 2 shown]
	v_pk_fma_f32 v[2:3], v[8:9], v[14:15], v[30:31] op_sel:[0,0,1] op_sel_hi:[1,1,0]
	v_pk_fma_f32 v[4:5], v[8:9], v[14:15], v[30:31] op_sel:[0,0,1] op_sel_hi:[1,0,0] neg_lo:[1,0,0] neg_hi:[1,0,0]
	v_pk_mul_f32 v[0:1], v[16:17], v[0:1] op_sel_hi:[1,0]
	v_pk_add_f32 v[6:7], v[20:21], v[42:43]
	v_pk_add_f32 v[8:9], v[22:23], v[28:29]
	v_mov_b32_e32 v3, v5
	v_pk_fma_f32 v[4:5], v[16:17], v[10:11], v[0:1] op_sel:[0,0,1] op_sel_hi:[1,1,0]
	v_pk_fma_f32 v[0:1], v[16:17], v[10:11], v[0:1] op_sel:[0,0,1] op_sel_hi:[1,0,0] neg_lo:[0,0,1] neg_hi:[0,0,1]
	v_pk_add_f32 v[10:11], v[42:43], v[26:27]
	v_pk_add_f32 v[14:15], v[42:43], v[26:27] neg_lo:[0,1] neg_hi:[0,1]
	v_pk_add_f32 v[16:17], v[28:29], v[12:13]
	v_pk_add_f32 v[28:29], v[28:29], v[12:13] neg_lo:[0,1] neg_hi:[0,1]
	v_pk_add_f32 v[6:7], v[6:7], v[26:27]
	v_pk_add_f32 v[8:9], v[8:9], v[12:13]
	v_mov_b32_e32 v5, v1
	v_pk_fma_f32 v[10:11], v[10:11], 0.5, v[20:21] op_sel_hi:[1,0,1] neg_lo:[1,0,0] neg_hi:[1,0,0]
	v_pk_mul_f32 v[12:13], v[14:15], s[2:3] op_sel_hi:[1,0]
	v_pk_fma_f32 v[14:15], v[16:17], 0.5, v[22:23] op_sel_hi:[1,0,1] neg_lo:[1,0,0] neg_hi:[1,0,0]
	v_pk_mul_f32 v[16:17], v[28:29], s[2:3] op_sel_hi:[1,0]
	v_pk_add_f32 v[0:1], v[24:25], v[2:3]
	v_pk_add_f32 v[20:21], v[10:11], v[12:13] op_sel:[0,1] op_sel_hi:[1,0] neg_lo:[0,1] neg_hi:[0,1]
	v_pk_add_f32 v[10:11], v[10:11], v[12:13] op_sel:[0,1] op_sel_hi:[1,0]
	ds_write2_b64 v250, v[6:7], v[8:9] offset1:102
	v_pk_add_f32 v[6:7], v[14:15], v[16:17] op_sel:[0,1] op_sel_hi:[1,0] neg_lo:[0,1] neg_hi:[0,1]
	v_pk_add_f32 v[8:9], v[14:15], v[16:17] op_sel:[0,1] op_sel_hi:[1,0]
	v_pk_add_f32 v[12:13], v[2:3], v[4:5]
	v_pk_add_f32 v[2:3], v[2:3], v[4:5] neg_lo:[0,1] neg_hi:[0,1]
	v_pk_add_f32 v[0:1], v[0:1], v[4:5]
	v_mov_b32_e32 v5, v11
	v_mov_b32_e32 v11, v21
	;; [unrolled: 1-line block ×5, first 2 shown]
	v_pk_fma_f32 v[6:7], v[12:13], 0.5, v[24:25] op_sel_hi:[1,0,1] neg_lo:[1,0,0] neg_hi:[1,0,0]
	v_pk_mul_f32 v[2:3], v[2:3], s[2:3] op_sel_hi:[1,0]
	v_mov_b32_e32 v4, v20
	ds_write2_b64 v35, v[10:11], v[8:9] offset0:100 offset1:202
	ds_write2_b64 v19, v[0:1], v[4:5] offset0:76 offset1:178
	v_pk_add_f32 v[0:1], v[6:7], v[2:3] op_sel:[0,1] op_sel_hi:[1,0] neg_lo:[0,1] neg_hi:[0,1]
	v_pk_add_f32 v[2:3], v[6:7], v[2:3] op_sel:[0,1] op_sel_hi:[1,0]
	v_mov_b32_e32 v4, v0
	v_mov_b32_e32 v5, v3
	;; [unrolled: 1-line block ×3, first 2 shown]
	ds_write2_b64 v18, v[14:15], v[4:5] offset0:152 offset1:254
	ds_write_b64 v250, v[2:3] offset:6528
	s_waitcnt lgkmcnt(0)
	s_barrier
	s_and_saveexec_b64 s[2:3], s[0:1]
	s_cbranch_execz .LBB0_27
; %bb.26:
	v_lshl_add_u32 v8, v34, 3, 0
	ds_read2_b64 v[0:3], v8 offset1:102
	v_mov_b32_e32 v35, 0
	v_add_u32_e32 v4, 0x66, v34
	v_lshl_add_u64 v[6:7], v[34:35], 3, v[64:65]
	v_mov_b32_e32 v5, v35
	s_waitcnt lgkmcnt(0)
	global_store_dwordx2 v[6:7], v[0:1], off
	v_lshl_add_u64 v[0:1], v[4:5], 3, v[64:65]
	v_add_u32_e32 v4, 0x400, v8
	ds_read2_b64 v[4:7], v4 offset0:76 offset1:178
	global_store_dwordx2 v[0:1], v[2:3], off
	v_add_u32_e32 v0, 0xcc, v34
	v_mov_b32_e32 v1, v35
	v_lshl_add_u64 v[0:1], v[0:1], 3, v[64:65]
	s_waitcnt lgkmcnt(0)
	global_store_dwordx2 v[0:1], v[4:5], off
	v_add_u32_e32 v0, 0x132, v34
	v_mov_b32_e32 v1, v35
	v_lshl_add_u64 v[4:5], v[0:1], 3, v[64:65]
	v_add_u32_e32 v0, 0x800, v8
	ds_read2_b64 v[0:3], v0 offset0:152 offset1:254
	global_store_dwordx2 v[4:5], v[6:7], off
	v_add_u32_e32 v4, 0x198, v34
	v_mov_b32_e32 v5, v35
	v_lshl_add_u64 v[4:5], v[4:5], 3, v[64:65]
	s_waitcnt lgkmcnt(0)
	global_store_dwordx2 v[4:5], v[0:1], off
	v_add_u32_e32 v4, 0x1000, v8
	ds_read2_b64 v[4:7], v4 offset0:100 offset1:202
	v_add_u32_e32 v0, 0x1fe, v34
	v_mov_b32_e32 v1, v35
	v_lshl_add_u64 v[0:1], v[0:1], 3, v[64:65]
	global_store_dwordx2 v[0:1], v[2:3], off
	v_add_u32_e32 v0, 0x264, v34
	v_mov_b32_e32 v1, v35
	ds_read_b64 v[2:3], v8 offset:6528
	v_lshl_add_u64 v[0:1], v[0:1], 3, v[64:65]
	s_waitcnt lgkmcnt(1)
	global_store_dwordx2 v[0:1], v[4:5], off
	v_add_u32_e32 v0, 0x2ca, v34
	v_mov_b32_e32 v1, v35
	v_lshl_add_u64 v[0:1], v[0:1], 3, v[64:65]
	v_add_u32_e32 v34, 0x330, v34
	global_store_dwordx2 v[0:1], v[6:7], off
	v_lshl_add_u64 v[0:1], v[34:35], 3, v[64:65]
	s_waitcnt lgkmcnt(0)
	global_store_dwordx2 v[0:1], v[2:3], off
.LBB0_27:
	s_endpgm
	.section	.rodata,"a",@progbits
	.p2align	6, 0x0
	.amdhsa_kernel fft_rtc_back_len918_factors_17_9_2_3_wgs_102_tpt_102_halfLds_sp_ip_CI_unitstride_sbrr_C2R_dirReg
		.amdhsa_group_segment_fixed_size 0
		.amdhsa_private_segment_fixed_size 0
		.amdhsa_kernarg_size 88
		.amdhsa_user_sgpr_count 2
		.amdhsa_user_sgpr_dispatch_ptr 0
		.amdhsa_user_sgpr_queue_ptr 0
		.amdhsa_user_sgpr_kernarg_segment_ptr 1
		.amdhsa_user_sgpr_dispatch_id 0
		.amdhsa_user_sgpr_kernarg_preload_length 0
		.amdhsa_user_sgpr_kernarg_preload_offset 0
		.amdhsa_user_sgpr_private_segment_size 0
		.amdhsa_uses_dynamic_stack 0
		.amdhsa_enable_private_segment 0
		.amdhsa_system_sgpr_workgroup_id_x 1
		.amdhsa_system_sgpr_workgroup_id_y 0
		.amdhsa_system_sgpr_workgroup_id_z 0
		.amdhsa_system_sgpr_workgroup_info 0
		.amdhsa_system_vgpr_workitem_id 0
		.amdhsa_next_free_vgpr 278
		.amdhsa_next_free_sgpr 50
		.amdhsa_accum_offset 256
		.amdhsa_reserve_vcc 1
		.amdhsa_float_round_mode_32 0
		.amdhsa_float_round_mode_16_64 0
		.amdhsa_float_denorm_mode_32 3
		.amdhsa_float_denorm_mode_16_64 3
		.amdhsa_dx10_clamp 1
		.amdhsa_ieee_mode 1
		.amdhsa_fp16_overflow 0
		.amdhsa_tg_split 0
		.amdhsa_exception_fp_ieee_invalid_op 0
		.amdhsa_exception_fp_denorm_src 0
		.amdhsa_exception_fp_ieee_div_zero 0
		.amdhsa_exception_fp_ieee_overflow 0
		.amdhsa_exception_fp_ieee_underflow 0
		.amdhsa_exception_fp_ieee_inexact 0
		.amdhsa_exception_int_div_zero 0
	.end_amdhsa_kernel
	.text
.Lfunc_end0:
	.size	fft_rtc_back_len918_factors_17_9_2_3_wgs_102_tpt_102_halfLds_sp_ip_CI_unitstride_sbrr_C2R_dirReg, .Lfunc_end0-fft_rtc_back_len918_factors_17_9_2_3_wgs_102_tpt_102_halfLds_sp_ip_CI_unitstride_sbrr_C2R_dirReg
                                        ; -- End function
	.section	.AMDGPU.csdata,"",@progbits
; Kernel info:
; codeLenInByte = 9584
; NumSgprs: 56
; NumVgprs: 256
; NumAgprs: 22
; TotalNumVgprs: 278
; ScratchSize: 0
; MemoryBound: 0
; FloatMode: 240
; IeeeMode: 1
; LDSByteSize: 0 bytes/workgroup (compile time only)
; SGPRBlocks: 6
; VGPRBlocks: 34
; NumSGPRsForWavesPerEU: 56
; NumVGPRsForWavesPerEU: 278
; AccumOffset: 256
; Occupancy: 1
; WaveLimiterHint : 1
; COMPUTE_PGM_RSRC2:SCRATCH_EN: 0
; COMPUTE_PGM_RSRC2:USER_SGPR: 2
; COMPUTE_PGM_RSRC2:TRAP_HANDLER: 0
; COMPUTE_PGM_RSRC2:TGID_X_EN: 1
; COMPUTE_PGM_RSRC2:TGID_Y_EN: 0
; COMPUTE_PGM_RSRC2:TGID_Z_EN: 0
; COMPUTE_PGM_RSRC2:TIDIG_COMP_CNT: 0
; COMPUTE_PGM_RSRC3_GFX90A:ACCUM_OFFSET: 63
; COMPUTE_PGM_RSRC3_GFX90A:TG_SPLIT: 0
	.text
	.p2alignl 6, 3212836864
	.fill 256, 4, 3212836864
	.type	__hip_cuid_4a1aa757e0bd92a6,@object ; @__hip_cuid_4a1aa757e0bd92a6
	.section	.bss,"aw",@nobits
	.globl	__hip_cuid_4a1aa757e0bd92a6
__hip_cuid_4a1aa757e0bd92a6:
	.byte	0                               ; 0x0
	.size	__hip_cuid_4a1aa757e0bd92a6, 1

	.ident	"AMD clang version 19.0.0git (https://github.com/RadeonOpenCompute/llvm-project roc-6.4.0 25133 c7fe45cf4b819c5991fe208aaa96edf142730f1d)"
	.section	".note.GNU-stack","",@progbits
	.addrsig
	.addrsig_sym __hip_cuid_4a1aa757e0bd92a6
	.amdgpu_metadata
---
amdhsa.kernels:
  - .agpr_count:     22
    .args:
      - .actual_access:  read_only
        .address_space:  global
        .offset:         0
        .size:           8
        .value_kind:     global_buffer
      - .offset:         8
        .size:           8
        .value_kind:     by_value
      - .actual_access:  read_only
        .address_space:  global
        .offset:         16
        .size:           8
        .value_kind:     global_buffer
      - .actual_access:  read_only
        .address_space:  global
        .offset:         24
        .size:           8
        .value_kind:     global_buffer
      - .offset:         32
        .size:           8
        .value_kind:     by_value
      - .actual_access:  read_only
        .address_space:  global
        .offset:         40
        .size:           8
        .value_kind:     global_buffer
      - .actual_access:  read_only
        .address_space:  global
        .offset:         48
        .size:           8
        .value_kind:     global_buffer
      - .offset:         56
        .size:           4
        .value_kind:     by_value
      - .actual_access:  read_only
        .address_space:  global
        .offset:         64
        .size:           8
        .value_kind:     global_buffer
      - .actual_access:  read_only
        .address_space:  global
        .offset:         72
        .size:           8
        .value_kind:     global_buffer
      - .address_space:  global
        .offset:         80
        .size:           8
        .value_kind:     global_buffer
    .group_segment_fixed_size: 0
    .kernarg_segment_align: 8
    .kernarg_segment_size: 88
    .language:       OpenCL C
    .language_version:
      - 2
      - 0
    .max_flat_workgroup_size: 102
    .name:           fft_rtc_back_len918_factors_17_9_2_3_wgs_102_tpt_102_halfLds_sp_ip_CI_unitstride_sbrr_C2R_dirReg
    .private_segment_fixed_size: 0
    .sgpr_count:     56
    .sgpr_spill_count: 0
    .symbol:         fft_rtc_back_len918_factors_17_9_2_3_wgs_102_tpt_102_halfLds_sp_ip_CI_unitstride_sbrr_C2R_dirReg.kd
    .uniform_work_group_size: 1
    .uses_dynamic_stack: false
    .vgpr_count:     278
    .vgpr_spill_count: 0
    .wavefront_size: 64
amdhsa.target:   amdgcn-amd-amdhsa--gfx950
amdhsa.version:
  - 1
  - 2
...

	.end_amdgpu_metadata
